;; amdgpu-corpus repo=ROCm/rocFFT kind=compiled arch=gfx1201 opt=O3
	.text
	.amdgcn_target "amdgcn-amd-amdhsa--gfx1201"
	.amdhsa_code_object_version 6
	.protected	fft_rtc_fwd_len1920_factors_10_6_16_2_wgs_240_tpt_120_halfLds_dp_op_CI_CI_unitstride_sbrr_dirReg ; -- Begin function fft_rtc_fwd_len1920_factors_10_6_16_2_wgs_240_tpt_120_halfLds_dp_op_CI_CI_unitstride_sbrr_dirReg
	.globl	fft_rtc_fwd_len1920_factors_10_6_16_2_wgs_240_tpt_120_halfLds_dp_op_CI_CI_unitstride_sbrr_dirReg
	.p2align	8
	.type	fft_rtc_fwd_len1920_factors_10_6_16_2_wgs_240_tpt_120_halfLds_dp_op_CI_CI_unitstride_sbrr_dirReg,@function
fft_rtc_fwd_len1920_factors_10_6_16_2_wgs_240_tpt_120_halfLds_dp_op_CI_CI_unitstride_sbrr_dirReg: ; @fft_rtc_fwd_len1920_factors_10_6_16_2_wgs_240_tpt_120_halfLds_dp_op_CI_CI_unitstride_sbrr_dirReg
; %bb.0:
	s_clause 0x2
	s_load_b128 s[8:11], s[0:1], 0x0
	s_load_b128 s[4:7], s[0:1], 0x58
	;; [unrolled: 1-line block ×3, first 2 shown]
	v_mul_u32_u24_e32 v1, 0x223, v0
	v_mov_b32_e32 v4, 0
	v_mov_b32_e32 v5, 0
	s_delay_alu instid0(VALU_DEP_3) | instskip(SKIP_1) | instid1(VALU_DEP_2)
	v_lshrrev_b32_e32 v80, 16, v1
	v_mov_b32_e32 v1, 0
	v_lshl_add_u32 v6, ttmp9, 1, v80
	s_delay_alu instid0(VALU_DEP_2) | instskip(SKIP_2) | instid1(VALU_DEP_1)
	v_mov_b32_e32 v7, v1
	s_wait_kmcnt 0x0
	v_cmp_lt_u64_e64 s2, s[10:11], 2
	s_and_b32 vcc_lo, exec_lo, s2
	s_cbranch_vccnz .LBB0_8
; %bb.1:
	s_load_b64 s[2:3], s[0:1], 0x10
	v_mov_b32_e32 v4, 0
	v_mov_b32_e32 v5, 0
	s_add_nc_u64 s[16:17], s[14:15], 8
	s_add_nc_u64 s[18:19], s[12:13], 8
	s_mov_b64 s[20:21], 1
	s_delay_alu instid0(VALU_DEP_1)
	v_dual_mov_b32 v113, v5 :: v_dual_mov_b32 v112, v4
	s_wait_kmcnt 0x0
	s_add_nc_u64 s[22:23], s[2:3], 8
	s_mov_b32 s3, 0
.LBB0_2:                                ; =>This Inner Loop Header: Depth=1
	s_load_b64 s[24:25], s[22:23], 0x0
                                        ; implicit-def: $vgpr116_vgpr117
	s_mov_b32 s2, exec_lo
	s_wait_kmcnt 0x0
	v_or_b32_e32 v2, s25, v7
	s_delay_alu instid0(VALU_DEP_1)
	v_cmpx_ne_u64_e32 0, v[1:2]
	s_wait_alu 0xfffe
	s_xor_b32 s26, exec_lo, s2
	s_cbranch_execz .LBB0_4
; %bb.3:                                ;   in Loop: Header=BB0_2 Depth=1
	s_cvt_f32_u32 s2, s24
	s_cvt_f32_u32 s27, s25
	s_sub_nc_u64 s[30:31], 0, s[24:25]
	s_wait_alu 0xfffe
	s_delay_alu instid0(SALU_CYCLE_1) | instskip(SKIP_1) | instid1(SALU_CYCLE_2)
	s_fmamk_f32 s2, s27, 0x4f800000, s2
	s_wait_alu 0xfffe
	v_s_rcp_f32 s2, s2
	s_delay_alu instid0(TRANS32_DEP_1) | instskip(SKIP_1) | instid1(SALU_CYCLE_2)
	s_mul_f32 s2, s2, 0x5f7ffffc
	s_wait_alu 0xfffe
	s_mul_f32 s27, s2, 0x2f800000
	s_wait_alu 0xfffe
	s_delay_alu instid0(SALU_CYCLE_2) | instskip(SKIP_1) | instid1(SALU_CYCLE_2)
	s_trunc_f32 s27, s27
	s_wait_alu 0xfffe
	s_fmamk_f32 s2, s27, 0xcf800000, s2
	s_cvt_u32_f32 s29, s27
	s_wait_alu 0xfffe
	s_delay_alu instid0(SALU_CYCLE_1) | instskip(SKIP_1) | instid1(SALU_CYCLE_2)
	s_cvt_u32_f32 s28, s2
	s_wait_alu 0xfffe
	s_mul_u64 s[34:35], s[30:31], s[28:29]
	s_wait_alu 0xfffe
	s_mul_hi_u32 s37, s28, s35
	s_mul_i32 s36, s28, s35
	s_mul_hi_u32 s2, s28, s34
	s_mul_i32 s33, s29, s34
	s_wait_alu 0xfffe
	s_add_nc_u64 s[36:37], s[2:3], s[36:37]
	s_mul_hi_u32 s27, s29, s34
	s_mul_hi_u32 s38, s29, s35
	s_add_co_u32 s2, s36, s33
	s_wait_alu 0xfffe
	s_add_co_ci_u32 s2, s37, s27
	s_mul_i32 s34, s29, s35
	s_add_co_ci_u32 s35, s38, 0
	s_wait_alu 0xfffe
	s_add_nc_u64 s[34:35], s[2:3], s[34:35]
	s_wait_alu 0xfffe
	v_add_co_u32 v2, s2, s28, s34
	s_delay_alu instid0(VALU_DEP_1) | instskip(SKIP_1) | instid1(VALU_DEP_1)
	s_cmp_lg_u32 s2, 0
	s_add_co_ci_u32 s29, s29, s35
	v_readfirstlane_b32 s28, v2
	s_wait_alu 0xfffe
	s_delay_alu instid0(VALU_DEP_1)
	s_mul_u64 s[30:31], s[30:31], s[28:29]
	s_wait_alu 0xfffe
	s_mul_hi_u32 s35, s28, s31
	s_mul_i32 s34, s28, s31
	s_mul_hi_u32 s2, s28, s30
	s_mul_i32 s33, s29, s30
	s_wait_alu 0xfffe
	s_add_nc_u64 s[34:35], s[2:3], s[34:35]
	s_mul_hi_u32 s27, s29, s30
	s_mul_hi_u32 s28, s29, s31
	s_wait_alu 0xfffe
	s_add_co_u32 s2, s34, s33
	s_add_co_ci_u32 s2, s35, s27
	s_mul_i32 s30, s29, s31
	s_add_co_ci_u32 s31, s28, 0
	s_wait_alu 0xfffe
	s_add_nc_u64 s[30:31], s[2:3], s[30:31]
	s_wait_alu 0xfffe
	v_add_co_u32 v8, s2, v2, s30
	s_delay_alu instid0(VALU_DEP_1) | instskip(SKIP_1) | instid1(VALU_DEP_1)
	s_cmp_lg_u32 s2, 0
	s_add_co_ci_u32 s2, s29, s31
	v_mul_hi_u32 v12, v6, v8
	s_wait_alu 0xfffe
	v_mad_co_u64_u32 v[2:3], null, v6, s2, 0
	v_mad_co_u64_u32 v[8:9], null, v7, v8, 0
	;; [unrolled: 1-line block ×3, first 2 shown]
	s_delay_alu instid0(VALU_DEP_3) | instskip(SKIP_1) | instid1(VALU_DEP_4)
	v_add_co_u32 v2, vcc_lo, v12, v2
	s_wait_alu 0xfffd
	v_add_co_ci_u32_e32 v3, vcc_lo, 0, v3, vcc_lo
	s_delay_alu instid0(VALU_DEP_2) | instskip(SKIP_1) | instid1(VALU_DEP_2)
	v_add_co_u32 v2, vcc_lo, v2, v8
	s_wait_alu 0xfffd
	v_add_co_ci_u32_e32 v2, vcc_lo, v3, v9, vcc_lo
	s_wait_alu 0xfffd
	v_add_co_ci_u32_e32 v3, vcc_lo, 0, v11, vcc_lo
	s_delay_alu instid0(VALU_DEP_2) | instskip(SKIP_1) | instid1(VALU_DEP_2)
	v_add_co_u32 v8, vcc_lo, v2, v10
	s_wait_alu 0xfffd
	v_add_co_ci_u32_e32 v9, vcc_lo, 0, v3, vcc_lo
	s_delay_alu instid0(VALU_DEP_2) | instskip(SKIP_1) | instid1(VALU_DEP_3)
	v_mul_lo_u32 v10, s25, v8
	v_mad_co_u64_u32 v[2:3], null, s24, v8, 0
	v_mul_lo_u32 v11, s24, v9
	s_delay_alu instid0(VALU_DEP_2) | instskip(NEXT) | instid1(VALU_DEP_2)
	v_sub_co_u32 v2, vcc_lo, v6, v2
	v_add3_u32 v3, v3, v11, v10
	s_delay_alu instid0(VALU_DEP_1) | instskip(SKIP_1) | instid1(VALU_DEP_1)
	v_sub_nc_u32_e32 v10, v7, v3
	s_wait_alu 0xfffd
	v_subrev_co_ci_u32_e64 v10, s2, s25, v10, vcc_lo
	v_add_co_u32 v11, s2, v8, 2
	s_wait_alu 0xf1ff
	v_add_co_ci_u32_e64 v12, s2, 0, v9, s2
	v_sub_co_u32 v13, s2, v2, s24
	v_sub_co_ci_u32_e32 v3, vcc_lo, v7, v3, vcc_lo
	s_wait_alu 0xf1ff
	v_subrev_co_ci_u32_e64 v10, s2, 0, v10, s2
	s_delay_alu instid0(VALU_DEP_3) | instskip(NEXT) | instid1(VALU_DEP_3)
	v_cmp_le_u32_e32 vcc_lo, s24, v13
	v_cmp_eq_u32_e64 s2, s25, v3
	s_wait_alu 0xfffd
	v_cndmask_b32_e64 v13, 0, -1, vcc_lo
	v_cmp_le_u32_e32 vcc_lo, s25, v10
	s_wait_alu 0xfffd
	v_cndmask_b32_e64 v14, 0, -1, vcc_lo
	v_cmp_le_u32_e32 vcc_lo, s24, v2
	;; [unrolled: 3-line block ×3, first 2 shown]
	s_wait_alu 0xfffd
	v_cndmask_b32_e64 v15, 0, -1, vcc_lo
	v_cmp_eq_u32_e32 vcc_lo, s25, v10
	s_wait_alu 0xf1ff
	s_delay_alu instid0(VALU_DEP_2)
	v_cndmask_b32_e64 v2, v15, v2, s2
	s_wait_alu 0xfffd
	v_cndmask_b32_e32 v10, v14, v13, vcc_lo
	v_add_co_u32 v13, vcc_lo, v8, 1
	s_wait_alu 0xfffd
	v_add_co_ci_u32_e32 v14, vcc_lo, 0, v9, vcc_lo
	s_delay_alu instid0(VALU_DEP_3) | instskip(SKIP_1) | instid1(VALU_DEP_2)
	v_cmp_ne_u32_e32 vcc_lo, 0, v10
	s_wait_alu 0xfffd
	v_dual_cndmask_b32 v3, v14, v12 :: v_dual_cndmask_b32 v10, v13, v11
	v_cmp_ne_u32_e32 vcc_lo, 0, v2
	s_wait_alu 0xfffd
	s_delay_alu instid0(VALU_DEP_2)
	v_dual_cndmask_b32 v117, v9, v3 :: v_dual_cndmask_b32 v116, v8, v10
.LBB0_4:                                ;   in Loop: Header=BB0_2 Depth=1
	s_wait_alu 0xfffe
	s_and_not1_saveexec_b32 s2, s26
	s_cbranch_execz .LBB0_6
; %bb.5:                                ;   in Loop: Header=BB0_2 Depth=1
	v_cvt_f32_u32_e32 v2, s24
	s_sub_co_i32 s26, 0, s24
	v_mov_b32_e32 v117, v1
	s_delay_alu instid0(VALU_DEP_2) | instskip(NEXT) | instid1(TRANS32_DEP_1)
	v_rcp_iflag_f32_e32 v2, v2
	v_mul_f32_e32 v2, 0x4f7ffffe, v2
	s_delay_alu instid0(VALU_DEP_1) | instskip(SKIP_1) | instid1(VALU_DEP_1)
	v_cvt_u32_f32_e32 v2, v2
	s_wait_alu 0xfffe
	v_mul_lo_u32 v3, s26, v2
	s_delay_alu instid0(VALU_DEP_1) | instskip(NEXT) | instid1(VALU_DEP_1)
	v_mul_hi_u32 v3, v2, v3
	v_add_nc_u32_e32 v2, v2, v3
	s_delay_alu instid0(VALU_DEP_1) | instskip(NEXT) | instid1(VALU_DEP_1)
	v_mul_hi_u32 v2, v6, v2
	v_mul_lo_u32 v3, v2, s24
	v_add_nc_u32_e32 v8, 1, v2
	s_delay_alu instid0(VALU_DEP_2) | instskip(NEXT) | instid1(VALU_DEP_1)
	v_sub_nc_u32_e32 v3, v6, v3
	v_subrev_nc_u32_e32 v9, s24, v3
	v_cmp_le_u32_e32 vcc_lo, s24, v3
	s_wait_alu 0xfffd
	s_delay_alu instid0(VALU_DEP_2) | instskip(NEXT) | instid1(VALU_DEP_1)
	v_dual_cndmask_b32 v3, v3, v9 :: v_dual_cndmask_b32 v2, v2, v8
	v_cmp_le_u32_e32 vcc_lo, s24, v3
	s_delay_alu instid0(VALU_DEP_2) | instskip(SKIP_1) | instid1(VALU_DEP_1)
	v_add_nc_u32_e32 v8, 1, v2
	s_wait_alu 0xfffd
	v_cndmask_b32_e32 v116, v2, v8, vcc_lo
.LBB0_6:                                ;   in Loop: Header=BB0_2 Depth=1
	s_wait_alu 0xfffe
	s_or_b32 exec_lo, exec_lo, s2
	v_mul_lo_u32 v8, v117, s24
	s_delay_alu instid0(VALU_DEP_2)
	v_mul_lo_u32 v9, v116, s25
	s_load_b64 s[26:27], s[18:19], 0x0
	v_mad_co_u64_u32 v[2:3], null, v116, s24, 0
	s_load_b64 s[24:25], s[16:17], 0x0
	s_add_nc_u64 s[20:21], s[20:21], 1
	s_add_nc_u64 s[16:17], s[16:17], 8
	s_wait_alu 0xfffe
	v_cmp_ge_u64_e64 s2, s[20:21], s[10:11]
	s_add_nc_u64 s[18:19], s[18:19], 8
	s_add_nc_u64 s[22:23], s[22:23], 8
	v_add3_u32 v3, v3, v9, v8
	v_sub_co_u32 v2, vcc_lo, v6, v2
	s_wait_alu 0xfffd
	s_delay_alu instid0(VALU_DEP_2) | instskip(SKIP_2) | instid1(VALU_DEP_1)
	v_sub_co_ci_u32_e32 v3, vcc_lo, v7, v3, vcc_lo
	s_and_b32 vcc_lo, exec_lo, s2
	s_wait_kmcnt 0x0
	v_mul_lo_u32 v6, s26, v3
	v_mul_lo_u32 v7, s27, v2
	v_mad_co_u64_u32 v[4:5], null, s26, v2, v[4:5]
	v_mul_lo_u32 v3, s24, v3
	v_mul_lo_u32 v8, s25, v2
	v_mad_co_u64_u32 v[112:113], null, s24, v2, v[112:113]
	s_delay_alu instid0(VALU_DEP_4) | instskip(NEXT) | instid1(VALU_DEP_2)
	v_add3_u32 v5, v7, v5, v6
	v_add3_u32 v113, v8, v113, v3
	s_wait_alu 0xfffe
	s_cbranch_vccnz .LBB0_9
; %bb.7:                                ;   in Loop: Header=BB0_2 Depth=1
	v_dual_mov_b32 v6, v116 :: v_dual_mov_b32 v7, v117
	s_branch .LBB0_2
.LBB0_8:
	v_dual_mov_b32 v113, v5 :: v_dual_mov_b32 v112, v4
	v_dual_mov_b32 v117, v7 :: v_dual_mov_b32 v116, v6
.LBB0_9:
	s_load_b64 s[0:1], s[0:1], 0x28
	v_mul_hi_u32 v1, 0x2222223, v0
	s_lshl_b64 s[10:11], s[10:11], 3
                                        ; implicit-def: $vgpr114
	s_wait_alu 0xfffe
	s_add_nc_u64 s[2:3], s[14:15], s[10:11]
	s_wait_kmcnt 0x0
	v_cmp_gt_u64_e32 vcc_lo, s[0:1], v[116:117]
	v_cmp_le_u64_e64 s0, s[0:1], v[116:117]
	s_delay_alu instid0(VALU_DEP_1)
	s_and_saveexec_b32 s1, s0
	s_wait_alu 0xfffe
	s_xor_b32 s0, exec_lo, s1
; %bb.10:
	v_mul_u32_u24_e32 v1, 0x78, v1
                                        ; implicit-def: $vgpr4_vgpr5
	s_delay_alu instid0(VALU_DEP_1)
	v_sub_nc_u32_e32 v114, v0, v1
                                        ; implicit-def: $vgpr1
                                        ; implicit-def: $vgpr0
; %bb.11:
	s_wait_alu 0xfffe
	s_or_saveexec_b32 s1, s0
	s_load_b64 s[2:3], s[2:3], 0x0
                                        ; implicit-def: $vgpr34_vgpr35
                                        ; implicit-def: $vgpr14_vgpr15
                                        ; implicit-def: $vgpr38_vgpr39
                                        ; implicit-def: $vgpr22_vgpr23
                                        ; implicit-def: $vgpr26_vgpr27
                                        ; implicit-def: $vgpr10_vgpr11
                                        ; implicit-def: $vgpr2_vgpr3
                                        ; implicit-def: $vgpr42_vgpr43
                                        ; implicit-def: $vgpr50_vgpr51
                                        ; implicit-def: $vgpr46_vgpr47
                                        ; implicit-def: $vgpr78_vgpr79
                                        ; implicit-def: $vgpr62_vgpr63
                                        ; implicit-def: $vgpr70_vgpr71
                                        ; implicit-def: $vgpr58_vgpr59
                                        ; implicit-def: $vgpr66_vgpr67
                                        ; implicit-def: $vgpr54_vgpr55
                                        ; implicit-def: $vgpr74_vgpr75
                                        ; implicit-def: $vgpr6_vgpr7
                                        ; implicit-def: $vgpr18_vgpr19
                                        ; implicit-def: $vgpr30_vgpr31
	s_xor_b32 exec_lo, exec_lo, s1
	s_cbranch_execz .LBB0_15
; %bb.12:
	s_add_nc_u64 s[10:11], s[12:13], s[10:11]
                                        ; implicit-def: $vgpr72_vgpr73
                                        ; implicit-def: $vgpr52_vgpr53
                                        ; implicit-def: $vgpr64_vgpr65
                                        ; implicit-def: $vgpr56_vgpr57
                                        ; implicit-def: $vgpr68_vgpr69
                                        ; implicit-def: $vgpr60_vgpr61
                                        ; implicit-def: $vgpr76_vgpr77
                                        ; implicit-def: $vgpr44_vgpr45
                                        ; implicit-def: $vgpr48_vgpr49
                                        ; implicit-def: $vgpr40_vgpr41
	s_load_b64 s[10:11], s[10:11], 0x0
	s_wait_kmcnt 0x0
	v_mul_lo_u32 v6, s11, v116
	v_mul_lo_u32 v7, s10, v117
	v_mad_co_u64_u32 v[2:3], null, s10, v116, 0
	s_delay_alu instid0(VALU_DEP_1) | instskip(SKIP_1) | instid1(VALU_DEP_2)
	v_add3_u32 v3, v3, v7, v6
	v_mul_u32_u24_e32 v6, 0x78, v1
	v_lshlrev_b64_e32 v[1:2], 4, v[2:3]
	v_lshlrev_b64_e32 v[3:4], 4, v[4:5]
	s_delay_alu instid0(VALU_DEP_3) | instskip(NEXT) | instid1(VALU_DEP_3)
	v_sub_nc_u32_e32 v114, v0, v6
	v_add_co_u32 v0, s0, s4, v1
	s_wait_alu 0xf1ff
	s_delay_alu instid0(VALU_DEP_4) | instskip(NEXT) | instid1(VALU_DEP_3)
	v_add_co_ci_u32_e64 v1, s0, s5, v2, s0
	v_lshlrev_b32_e32 v2, 4, v114
	s_delay_alu instid0(VALU_DEP_3) | instskip(SKIP_1) | instid1(VALU_DEP_3)
	v_add_co_u32 v0, s0, v0, v3
	s_wait_alu 0xf1ff
	v_add_co_ci_u32_e64 v1, s0, v1, v4, s0
	s_mov_b32 s4, exec_lo
	s_delay_alu instid0(VALU_DEP_2) | instskip(SKIP_1) | instid1(VALU_DEP_2)
	v_add_co_u32 v70, s0, v0, v2
	s_wait_alu 0xf1ff
	v_add_co_ci_u32_e64 v71, s0, 0, v1, s0
	s_clause 0x9
	global_load_b128 v[28:31], v[70:71], off
	global_load_b128 v[32:35], v[70:71], off offset:3072
	global_load_b128 v[12:15], v[70:71], off offset:6144
	;; [unrolled: 1-line block ×9, first 2 shown]
	v_cmpx_gt_u32_e32 0x48, v114
; %bb.13:
	s_clause 0x9
	global_load_b128 v[40:43], v[70:71], off offset:1920
	global_load_b128 v[48:51], v[70:71], off offset:4992
	;; [unrolled: 1-line block ×10, first 2 shown]
; %bb.14:
	s_wait_alu 0xfffe
	s_or_b32 exec_lo, exec_lo, s4
.LBB0_15:
	s_delay_alu instid0(SALU_CYCLE_1)
	s_or_b32 exec_lo, exec_lo, s1
	s_wait_loadcnt 0x3
	v_add_f64_e32 v[81:82], v[20:21], v[16:17]
	s_wait_loadcnt 0x1
	v_add_f64_e32 v[83:84], v[12:13], v[0:1]
	v_add_f64_e32 v[85:86], v[24:25], v[8:9]
	s_wait_loadcnt 0x0
	v_add_f64_e32 v[87:88], v[36:37], v[4:5]
	v_add_f64_e32 v[89:90], v[26:27], v[10:11]
	;; [unrolled: 1-line block ×3, first 2 shown]
	v_add_f64_e64 v[93:94], v[12:13], -v[20:21]
	v_add_f64_e64 v[95:96], v[0:1], -v[16:17]
	;; [unrolled: 1-line block ×19, first 2 shown]
	v_add_f64_e32 v[138:139], v[64:65], v[72:73]
	v_add_f64_e64 v[140:141], v[56:57], -v[52:53]
	v_add_f64_e64 v[142:143], v[60:61], -v[44:45]
	v_add_f64_e32 v[144:145], v[76:77], v[68:69]
	v_add_f64_e64 v[146:147], v[52:53], -v[56:57]
	v_add_f64_e64 v[148:149], v[76:77], -v[72:73]
	;; [unrolled: 3-line block ×3, first 2 shown]
	v_add_f64_e32 v[156:157], v[78:79], v[70:71]
	v_add_f64_e64 v[158:159], v[64:65], -v[68:69]
	s_mov_b32 s0, 0x134454ff
	s_mov_b32 s1, 0x3fee6f0e
	v_fma_f64 v[81:82], v[81:82], -0.5, v[28:29]
	v_fma_f64 v[83:84], v[83:84], -0.5, v[28:29]
	;; [unrolled: 1-line block ×6, first 2 shown]
	s_mov_b32 s11, 0xbfee6f0e
	s_wait_alu 0xfffe
	s_mov_b32 s10, s0
	v_add_f64_e64 v[160:161], v[78:79], -v[74:75]
	v_add_f64_e64 v[162:163], v[70:71], -v[66:67]
	;; [unrolled: 1-line block ×4, first 2 shown]
	v_add_f64_e32 v[93:94], v[93:94], v[95:96]
	v_add_f64_e64 v[95:96], v[78:79], -v[70:71]
	v_add_f64_e32 v[97:98], v[97:98], v[99:100]
	v_add_f64_e64 v[99:100], v[74:75], -v[66:67]
	;; [unrolled: 2-line block ×4, first 2 shown]
	v_add_f64_e32 v[109:110], v[109:110], v[118:119]
	v_add_f64_e32 v[122:123], v[120:121], v[122:123]
	s_mov_b32 s4, 0x4755a5e
	s_mov_b32 s5, 0x3fe2cf23
	s_mov_b32 s13, 0xbfe2cf23
	v_fma_f64 v[138:139], v[138:139], -0.5, v[48:49]
	v_add_f64_e32 v[136:137], v[136:137], v[140:141]
	s_wait_alu 0xfffe
	s_mov_b32 s12, s4
	v_fma_f64 v[144:145], v[144:145], -0.5, v[48:49]
	v_add_f64_e32 v[142:143], v[142:143], v[146:147]
	v_add_f64_e32 v[28:29], v[12:13], v[28:29]
	v_fma_f64 v[150:151], v[150:151], -0.5, v[50:51]
	v_add_f64_e32 v[148:149], v[152:153], v[148:149]
	v_add_f64_e32 v[32:33], v[32:33], v[36:37]
	v_fma_f64 v[156:157], v[156:157], -0.5, v[50:51]
	v_add_f64_e32 v[154:155], v[158:159], v[154:155]
	s_mov_b32 s14, 0x372fe950
	s_mov_b32 s15, 0x3fd3c6ef
	v_fma_f64 v[118:119], v[124:125], s[0:1], v[81:82]
	v_fma_f64 v[81:82], v[124:125], s[10:11], v[81:82]
	;; [unrolled: 1-line block ×12, first 2 shown]
	v_add_f64_e32 v[160:161], v[162:163], v[160:161]
	v_add_f64_e32 v[162:163], v[166:167], v[164:165]
	v_add_f64_e32 v[48:49], v[48:49], v[76:77]
	v_and_b32_e32 v80, 1, v80
	v_add_f64_e32 v[28:29], v[20:21], v[28:29]
	v_add_f64_e32 v[32:33], v[32:33], v[24:25]
	v_fma_f64 v[36:37], v[126:127], s[4:5], v[118:119]
	v_fma_f64 v[81:82], v[126:127], s[12:13], v[81:82]
	v_add_f64_e32 v[118:119], v[60:61], v[52:53]
	v_fma_f64 v[164:165], v[124:125], s[4:5], v[120:121]
	v_fma_f64 v[83:84], v[124:125], s[12:13], v[83:84]
	;; [unrolled: 1-line block ×16, first 2 shown]
	v_add_f64_e32 v[132:133], v[44:45], v[56:57]
	v_fma_f64 v[144:145], v[103:104], s[0:1], v[150:151]
	v_fma_f64 v[150:151], v[107:108], s[10:11], v[156:157]
	v_add_f64_e32 v[32:33], v[32:33], v[8:9]
	v_fma_f64 v[118:119], v[118:119], -0.5, v[40:41]
	v_fma_f64 v[156:157], v[99:100], s[4:5], v[120:121]
	v_fma_f64 v[99:100], v[99:100], s[12:13], v[124:125]
	v_add_f64_e32 v[120:121], v[40:41], v[44:45]
	v_fma_f64 v[76:77], v[101:102], s[14:15], v[126:127]
	v_fma_f64 v[124:125], v[95:96], s[4:5], v[130:131]
	;; [unrolled: 1-line block ×4, first 2 shown]
	v_add_f64_e64 v[128:129], v[46:47], -v[58:59]
	v_fma_f64 v[24:25], v[109:110], s[14:15], v[146:147]
	v_fma_f64 v[130:131], v[103:104], s[12:13], v[134:135]
	v_add_f64_e64 v[134:135], v[62:63], -v[54:55]
	v_add_f64_e32 v[146:147], v[16:17], v[28:29]
	v_fma_f64 v[40:41], v[132:133], -0.5, v[40:41]
	v_fma_f64 v[107:108], v[107:108], s[4:5], v[144:145]
	v_fma_f64 v[103:104], v[103:104], s[4:5], v[150:151]
	v_add_f64_e32 v[144:145], v[48:49], v[72:73]
	v_fma_f64 v[28:29], v[101:102], s[14:15], v[85:86]
	v_fma_f64 v[72:73], v[105:106], s[14:15], v[87:88]
	;; [unrolled: 1-line block ×5, first 2 shown]
	v_add_f64_e32 v[132:133], v[120:121], v[60:61]
	v_fma_f64 v[120:121], v[105:106], s[14:15], v[140:141]
	v_fma_f64 v[85:86], v[128:129], s[0:1], v[118:119]
	;; [unrolled: 1-line block ×4, first 2 shown]
	v_mul_f64_e32 v[99:100], s[4:5], v[24:25]
	v_fma_f64 v[48:49], v[162:163], s[14:15], v[130:131]
	v_fma_f64 v[87:88], v[134:135], s[10:11], v[40:41]
	;; [unrolled: 1-line block ×4, first 2 shown]
	s_mov_b32 s10, 0x9b97f4a8
	s_mov_b32 s11, 0x3fe9e377
	v_add_f64_e32 v[140:141], v[0:1], v[146:147]
	v_fma_f64 v[146:147], v[93:94], s[14:15], v[36:37]
	v_fma_f64 v[130:131], v[122:123], s[14:15], v[91:92]
	v_mul_f64_e32 v[91:92], s[14:15], v[72:73]
	s_wait_alu 0xfffe
	v_mul_f64_e32 v[109:110], s[10:11], v[28:29]
	v_add_f64_e32 v[95:96], v[132:133], v[52:53]
	v_add_f64_e32 v[132:133], v[64:65], v[144:145]
	v_add_f64_e32 v[144:145], v[32:33], v[4:5]
	v_fma_f64 v[4:5], v[122:123], s[14:15], v[152:153]
	v_mul_f64_e32 v[89:90], s[14:15], v[120:121]
	v_fma_f64 v[122:123], v[160:161], s[14:15], v[107:108]
	v_mul_f64_e32 v[107:108], s[10:11], v[8:9]
	v_fma_f64 v[85:86], v[134:135], s[4:5], v[85:86]
	v_fma_f64 v[101:102], v[134:135], s[12:13], v[101:102]
	;; [unrolled: 1-line block ×4, first 2 shown]
	v_mul_f64_e32 v[99:100], s[0:1], v[48:49]
	v_fma_f64 v[87:88], v[128:129], s[4:5], v[87:88]
	v_fma_f64 v[105:106], v[128:129], s[12:13], v[105:106]
	;; [unrolled: 1-line block ×4, first 2 shown]
	v_mul_f64_e32 v[103:104], s[14:15], v[40:41]
	v_mul_f64_e32 v[134:135], s[10:11], v[118:119]
	v_fma_f64 v[138:139], v[97:98], s[14:15], v[164:165]
	v_fma_f64 v[152:153], v[130:131], s[0:1], -v[91:92]
	v_fma_f64 v[154:155], v[126:127], s[4:5], -v[109:110]
	v_add_f64_e32 v[32:33], v[56:57], v[95:96]
	v_add_f64_e32 v[36:37], v[68:69], v[132:133]
	v_fma_f64 v[132:133], v[93:94], s[14:15], v[81:82]
	v_add_f64_e32 v[81:82], v[144:145], v[140:141]
	v_fma_f64 v[89:90], v[4:5], s[0:1], v[89:90]
	v_fma_f64 v[96:97], v[122:123], s[4:5], -v[107:108]
	v_fma_f64 v[68:69], v[136:137], s[14:15], v[101:102]
	v_add_f64_e32 v[83:84], v[148:149], v[146:147]
	v_add_f64_e64 v[108:109], v[146:147], -v[148:149]
	v_fma_f64 v[156:157], v[142:143], s[14:15], v[87:88]
	v_fma_f64 v[92:93], v[142:143], s[14:15], v[105:106]
	;; [unrolled: 1-line block ×4, first 2 shown]
	v_fma_f64 v[94:95], v[124:125], s[0:1], -v[103:104]
	v_fma_f64 v[100:101], v[64:65], s[4:5], v[134:135]
	v_mul_u32_u24_e32 v85, 10, v114
	v_cmp_eq_u32_e64 s0, 1, v80
	v_add_f64_e64 v[106:107], v[140:141], -v[144:145]
	v_add_f64_e64 v[140:141], v[150:151], -v[152:153]
	v_cmp_gt_u32_e64 s1, 0x48, v114
	v_lshl_add_u32 v102, v85, 3, 0
	s_wait_alu 0xf1ff
	v_cndmask_b32_e64 v103, 0, 0x780, s0
	s_delay_alu instid0(VALU_DEP_1)
	v_lshl_add_u32 v135, v103, 3, v102
	v_add_f64_e64 v[86:87], v[32:33], -v[36:37]
	v_add_f64_e32 v[104:105], v[154:155], v[132:133]
	v_add_f64_e64 v[142:143], v[132:133], -v[154:155]
	v_add_f64_e64 v[110:111], v[138:139], -v[89:90]
	v_add_f64_e32 v[136:137], v[138:139], v[89:90]
	v_add_f64_e32 v[138:139], v[150:151], v[152:153]
	ds_store_b128 v135, v[81:84]
	v_add_f64_e32 v[84:85], v[68:69], v[96:97]
	ds_store_b128 v135, v[136:139] offset:16
	ds_store_b128 v135, v[104:107] offset:32
	;; [unrolled: 1-line block ×4, first 2 shown]
	v_add_f64_e32 v[80:81], v[156:157], v[158:159]
	v_add_f64_e32 v[82:83], v[92:93], v[94:95]
	v_add_f64_e64 v[90:91], v[156:157], -v[158:159]
	v_add_f64_e64 v[88:89], v[98:99], -v[100:101]
	s_and_saveexec_b32 s0, s1
	s_cbranch_execz .LBB0_17
; %bb.16:
	v_add_f64_e32 v[100:101], v[98:99], v[100:101]
	v_add_f64_e32 v[98:99], v[32:33], v[36:37]
	v_add_f64_e64 v[96:97], v[68:69], -v[96:97]
	v_add_f64_e64 v[94:95], v[92:93], -v[94:95]
	ds_store_b128 v135, v[84:87] offset:9632
	ds_store_b128 v135, v[88:91] offset:9648
	;; [unrolled: 1-line block ×5, first 2 shown]
.LBB0_17:
	s_wait_alu 0xfffe
	s_or_b32 exec_lo, exec_lo, s0
	v_lshlrev_b32_e32 v115, 3, v103
	v_mul_i32_i24_e32 v32, 0xffffffb8, v114
	v_lshlrev_b32_e32 v134, 3, v114
	global_wb scope:SCOPE_SE
	s_wait_dscnt 0x0
	s_wait_kmcnt 0x0
	s_barrier_signal -1
	s_barrier_wait -1
	v_add3_u32 v132, v102, v32, v115
	global_inv scope:SCOPE_SE
	v_add3_u32 v133, 0, v115, v134
	v_cmp_gt_u32_e64 s0, 0x50, v114
	v_add_nc_u32_e32 v32, 0x300, v132
	v_add_nc_u32_e32 v33, 0xd00, v132
	;; [unrolled: 1-line block ×5, first 2 shown]
	ds_load_2addr_b64 v[92:95], v32 offset0:24 offset1:224
	ds_load_2addr_b64 v[108:111], v33 offset0:24 offset1:224
	;; [unrolled: 1-line block ×5, first 2 shown]
	ds_load_b64 v[32:33], v133
	ds_load_b64 v[36:37], v132 offset:13760
	s_and_saveexec_b32 s4, s0
	s_cbranch_execz .LBB0_19
; %bb.18:
	v_add_nc_u32_e32 v68, 0x180, v132
	ds_load_2addr_stride64_b64 v[80:83], v68 offset0:3 offset1:8
	ds_load_2addr_stride64_b64 v[84:87], v68 offset0:13 offset1:18
	;; [unrolled: 1-line block ×3, first 2 shown]
.LBB0_19:
	s_wait_alu 0xfffe
	s_or_b32 exec_lo, exec_lo, s4
	v_add_f64_e32 v[68:69], v[22:23], v[18:19]
	v_add_f64_e32 v[136:137], v[14:15], v[2:3]
	;; [unrolled: 1-line block ×5, first 2 shown]
	v_add_f64_e64 v[0:1], v[12:13], -v[0:1]
	v_add_f64_e64 v[12:13], v[20:21], -v[16:17]
	v_add_f64_e32 v[16:17], v[34:35], v[38:39]
	v_add_f64_e32 v[20:21], v[42:43], v[46:47]
	;; [unrolled: 1-line block ×3, first 2 shown]
	v_add_f64_e64 v[50:51], v[60:61], -v[52:53]
	v_add_f64_e64 v[44:45], v[44:45], -v[56:57]
	s_mov_b32 s4, 0x134454ff
	s_mov_b32 s5, 0xbfee6f0e
	s_mov_b32 s11, 0x3fee6f0e
	s_wait_alu 0xfffe
	s_mov_b32 s10, s4
	v_add_f64_e64 v[56:57], v[14:15], -v[22:23]
	v_add_f64_e64 v[60:61], v[2:3], -v[18:19]
	;; [unrolled: 1-line block ×5, first 2 shown]
	s_mov_b32 s12, 0x372fe950
	s_mov_b32 s16, 0x9b97f4a8
	s_mov_b32 s13, 0x3fd3c6ef
	s_mov_b32 s15, 0x3fe2cf23
	s_mov_b32 s17, 0x3fe9e377
	v_mul_f64_e32 v[120:121], s[4:5], v[120:121]
	s_wait_alu 0xfffe
	v_mul_f64_e32 v[130:131], s[12:13], v[130:131]
	v_mul_f64_e32 v[126:127], s[16:17], v[126:127]
	;; [unrolled: 1-line block ×3, first 2 shown]
	global_wb scope:SCOPE_SE
	s_wait_dscnt 0x0
	s_barrier_signal -1
	s_barrier_wait -1
	global_inv scope:SCOPE_SE
	v_fma_f64 v[38:39], v[68:69], -0.5, v[30:31]
	v_fma_f64 v[30:31], v[136:137], -0.5, v[30:31]
	;; [unrolled: 1-line block ×4, first 2 shown]
	v_add_f64_e64 v[68:69], v[18:19], -v[2:3]
	v_add_f64_e32 v[22:23], v[22:23], v[142:143]
	v_add_f64_e64 v[136:137], v[58:59], -v[54:55]
	v_add_f64_e32 v[16:17], v[16:17], v[26:27]
	v_add_f64_e32 v[20:21], v[20:21], v[62:63]
	;; [unrolled: 1-line block ×3, first 2 shown]
	v_add_f64_e64 v[62:63], v[54:55], -v[58:59]
	v_add_f64_e32 v[56:57], v[56:57], v[60:61]
	v_fma_f64 v[60:61], v[4:5], s[12:13], v[120:121]
	v_fma_f64 v[34:35], v[0:1], s[4:5], v[38:39]
	v_fma_f64 v[74:75], v[12:13], s[10:11], v[30:31]
	v_fma_f64 v[30:31], v[12:13], s[4:5], v[30:31]
	v_fma_f64 v[38:39], v[0:1], s[10:11], v[38:39]
	v_fma_f64 v[138:139], v[50:51], s[10:11], v[52:53]
	v_fma_f64 v[52:53], v[50:51], s[4:5], v[52:53]
	v_fma_f64 v[140:141], v[44:45], s[10:11], v[42:43]
	v_fma_f64 v[42:43], v[44:45], s[4:5], v[42:43]
	s_mov_b32 s10, 0x4755a5e
	s_mov_b32 s11, 0xbfe2cf23
	s_wait_alu 0xfffe
	s_mov_b32 s14, s10
	v_mul_f64_e32 v[76:77], s[10:11], v[76:77]
	v_mul_f64_e32 v[118:119], s[10:11], v[118:119]
	v_add_f64_e32 v[14:15], v[14:15], v[68:69]
	v_add_f64_e32 v[18:19], v[18:19], v[22:23]
	;; [unrolled: 1-line block ×6, first 2 shown]
	v_fma_f64 v[62:63], v[72:73], s[4:5], -v[130:131]
	v_fma_f64 v[66:67], v[28:29], s[10:11], -v[126:127]
	v_fma_f64 v[22:23], v[12:13], s[10:11], v[34:35]
	v_fma_f64 v[26:27], v[0:1], s[10:11], v[74:75]
	s_wait_alu 0xfffe
	v_fma_f64 v[0:1], v[0:1], s[14:15], v[30:31]
	v_fma_f64 v[12:13], v[12:13], s[14:15], v[38:39]
	v_mul_f64_e32 v[30:31], s[12:13], v[124:125]
	v_mul_f64_e32 v[34:35], s[16:17], v[122:123]
	v_add_f64_e32 v[38:39], v[78:79], v[136:137]
	v_fma_f64 v[54:55], v[44:45], s[10:11], v[138:139]
	v_fma_f64 v[44:45], v[44:45], s[14:15], v[52:53]
	;; [unrolled: 1-line block ×5, first 2 shown]
	v_add_f64_e32 v[2:3], v[2:3], v[18:19]
	v_add_f64_e32 v[10:11], v[10:11], v[6:7]
	;; [unrolled: 1-line block ×4, first 2 shown]
	v_fma_f64 v[58:59], v[56:57], s[12:13], v[22:23]
	v_fma_f64 v[68:69], v[14:15], s[12:13], v[26:27]
	v_fma_f64 v[0:1], v[14:15], s[12:13], v[0:1]
	v_fma_f64 v[12:13], v[56:57], s[12:13], v[12:13]
	v_fma_f64 v[22:23], v[64:65], s[16:17], v[118:119]
	v_fma_f64 v[14:15], v[48:49], s[12:13], v[128:129]
	v_fma_f64 v[18:19], v[40:41], s[4:5], -v[30:31]
	v_fma_f64 v[6:7], v[8:9], s[10:11], -v[34:35]
	v_fma_f64 v[34:35], v[46:47], s[12:13], v[54:55]
	v_fma_f64 v[24:25], v[46:47], s[12:13], v[44:45]
	;; [unrolled: 1-line block ×4, first 2 shown]
	v_add_nc_u32_e32 v38, 0x78, v114
	v_add_f64_e32 v[28:29], v[10:11], v[2:3]
	v_add_f64_e64 v[41:42], v[2:3], -v[10:11]
	v_add_f64_e64 v[10:11], v[4:5], -v[16:17]
	v_add_f64_e32 v[30:31], v[58:59], v[50:51]
	v_add_f64_e64 v[47:48], v[58:59], -v[50:51]
	v_add_f64_e32 v[45:46], v[0:1], v[62:63]
	v_add_f64_e32 v[39:40], v[12:13], v[66:67]
	v_add_f64_e64 v[51:52], v[0:1], -v[62:63]
	v_add_f64_e64 v[53:54], v[12:13], -v[66:67]
	v_add_f64_e32 v[43:44], v[68:69], v[60:61]
	v_add_f64_e64 v[49:50], v[68:69], -v[60:61]
	v_add_f64_e32 v[0:1], v[34:35], v[14:15]
	v_add_f64_e32 v[2:3], v[24:25], v[18:19]
	;; [unrolled: 1-line block ×3, first 2 shown]
	v_add_f64_e64 v[12:13], v[26:27], -v[22:23]
	v_add_f64_e64 v[14:15], v[34:35], -v[14:15]
	ds_store_b128 v135, v[28:31]
	ds_store_b128 v135, v[43:46] offset:16
	ds_store_b128 v135, v[39:42] offset:32
	ds_store_b128 v135, v[47:50] offset:48
	ds_store_b128 v135, v[51:54] offset:64
	s_and_saveexec_b32 s4, s1
	s_cbranch_execz .LBB0_21
; %bb.20:
	v_add_f64_e32 v[28:29], v[4:5], v[16:17]
	v_add_f64_e32 v[30:31], v[26:27], v[22:23]
	v_add_f64_e64 v[4:5], v[24:25], -v[18:19]
	v_add_f64_e64 v[6:7], v[20:21], -v[6:7]
	v_mul_u32_u24_e32 v16, 10, v38
	s_delay_alu instid0(VALU_DEP_1) | instskip(NEXT) | instid1(VALU_DEP_1)
	v_lshlrev_b32_e32 v16, 3, v16
	v_add3_u32 v16, 0, v16, v115
	ds_store_b128 v16, v[8:11] offset:32
	ds_store_b128 v16, v[12:15] offset:48
	ds_store_b128 v16, v[28:31]
	ds_store_b128 v16, v[0:3] offset:16
	ds_store_b128 v16, v[4:7] offset:64
.LBB0_21:
	s_wait_alu 0xfffe
	s_or_b32 exec_lo, exec_lo, s4
	v_add_nc_u32_e32 v4, 0x300, v132
	v_add_nc_u32_e32 v16, 0xd00, v132
	;; [unrolled: 1-line block ×5, first 2 shown]
	global_wb scope:SCOPE_SE
	s_wait_dscnt 0x0
	s_barrier_signal -1
	s_barrier_wait -1
	global_inv scope:SCOPE_SE
	ds_load_2addr_b64 v[4:7], v4 offset0:24 offset1:224
	ds_load_2addr_b64 v[20:23], v16 offset0:24 offset1:224
	;; [unrolled: 1-line block ×5, first 2 shown]
	ds_load_b64 v[34:35], v133
	ds_load_b64 v[40:41], v132 offset:13760
	s_and_saveexec_b32 s1, s0
	s_cbranch_execz .LBB0_23
; %bb.22:
	v_add_nc_u32_e32 v12, 0x180, v132
	ds_load_2addr_stride64_b64 v[0:3], v12 offset0:3 offset1:8
	ds_load_2addr_stride64_b64 v[8:11], v12 offset0:13 offset1:18
	;; [unrolled: 1-line block ×3, first 2 shown]
.LBB0_23:
	s_wait_alu 0xfffe
	s_or_b32 exec_lo, exec_lo, s1
	v_and_b32_e32 v39, 0xff, v114
	v_and_b32_e32 v42, 0xff, v38
	v_add_nc_u32_e32 v70, 0xf0, v114
	s_mov_b32 s4, 0xe8584caa
	s_mov_b32 s5, 0x3febb67a
	v_mul_lo_u16 v39, 0xcd, v39
	v_mul_lo_u16 v42, 0xcd, v42
	v_and_b32_e32 v71, 0xffff, v70
	s_mov_b32 s11, 0xbfebb67a
	s_wait_alu 0xfffe
	s_mov_b32 s10, s4
	v_lshrrev_b16 v153, 11, v39
	v_lshrrev_b16 v154, 11, v42
	v_mul_u32_u24_e32 v71, 0xcccd, v71
	s_delay_alu instid0(VALU_DEP_3) | instskip(NEXT) | instid1(VALU_DEP_3)
	v_mul_lo_u16 v39, v153, 10
	v_mul_lo_u16 v42, v154, 10
	s_delay_alu instid0(VALU_DEP_3) | instskip(NEXT) | instid1(VALU_DEP_3)
	v_lshrrev_b32_e32 v157, 19, v71
	v_sub_nc_u16 v39, v114, v39
	s_delay_alu instid0(VALU_DEP_3) | instskip(NEXT) | instid1(VALU_DEP_2)
	v_sub_nc_u16 v38, v38, v42
	v_and_b32_e32 v155, 0xff, v39
	s_delay_alu instid0(VALU_DEP_2) | instskip(NEXT) | instid1(VALU_DEP_2)
	v_and_b32_e32 v156, 0xff, v38
	v_mul_u32_u24_e32 v38, 5, v155
	s_delay_alu instid0(VALU_DEP_2) | instskip(NEXT) | instid1(VALU_DEP_2)
	v_mul_u32_u24_e32 v39, 5, v156
	v_lshlrev_b32_e32 v38, 4, v38
	s_delay_alu instid0(VALU_DEP_2)
	v_lshlrev_b32_e32 v39, 4, v39
	s_clause 0x9
	global_load_b128 v[42:45], v38, s[8:9] offset:32
	global_load_b128 v[46:49], v38, s[8:9] offset:64
	;; [unrolled: 1-line block ×4, first 2 shown]
	global_load_b128 v[58:61], v38, s[8:9]
	global_load_b128 v[62:65], v39, s[8:9]
	global_load_b128 v[66:69], v38, s[8:9] offset:16
	global_load_b128 v[72:75], v38, s[8:9] offset:48
	;; [unrolled: 1-line block ×4, first 2 shown]
	v_mul_lo_u16 v38, v157, 10
	s_delay_alu instid0(VALU_DEP_1) | instskip(NEXT) | instid1(VALU_DEP_1)
	v_sub_nc_u16 v38, v70, v38
	v_and_b32_e32 v158, 0xffff, v38
	s_delay_alu instid0(VALU_DEP_1) | instskip(NEXT) | instid1(VALU_DEP_1)
	v_mul_u32_u24_e32 v38, 5, v158
	v_lshlrev_b32_e32 v38, 4, v38
	s_clause 0x4
	global_load_b128 v[122:125], v38, s[8:9] offset:32
	global_load_b128 v[126:129], v38, s[8:9] offset:64
	global_load_b128 v[135:138], v38, s[8:9]
	global_load_b128 v[139:142], v38, s[8:9] offset:16
	global_load_b128 v[143:146], v38, s[8:9] offset:48
	global_wb scope:SCOPE_SE
	s_wait_loadcnt_dscnt 0x0
	s_barrier_signal -1
	s_barrier_wait -1
	global_inv scope:SCOPE_SE
	v_mul_f64_e32 v[38:39], v[18:19], v[44:45]
	v_mul_f64_e32 v[44:45], v[98:99], v[44:45]
	;; [unrolled: 1-line block ×12, first 2 shown]
	v_fma_f64 v[98:99], v[98:99], v[42:43], -v[38:39]
	v_fma_f64 v[38:39], v[18:19], v[42:43], v[44:45]
	v_fma_f64 v[18:19], v[26:27], v[46:47], v[70:71]
	v_mul_f64_e32 v[42:43], v[16:17], v[78:79]
	v_fma_f64 v[28:29], v[28:29], v[50:51], v[52:53]
	v_fma_f64 v[26:27], v[40:41], v[54:55], v[147:148]
	v_fma_f64 v[44:45], v[102:103], v[46:47], -v[48:49]
	v_fma_f64 v[46:47], v[104:105], v[50:51], -v[130:131]
	;; [unrolled: 1-line block ×3, first 2 shown]
	v_mul_f64_e32 v[36:37], v[22:23], v[68:69]
	v_mul_f64_e32 v[40:41], v[30:31], v[74:75]
	;; [unrolled: 1-line block ×3, first 2 shown]
	v_fma_f64 v[6:7], v[6:7], v[58:59], v[60:61]
	v_fma_f64 v[20:21], v[20:21], v[62:63], v[64:65]
	v_fma_f64 v[52:53], v[94:95], v[58:59], -v[149:150]
	v_fma_f64 v[58:59], v[108:109], v[62:63], -v[151:152]
	v_mul_f64_e32 v[68:69], v[110:111], v[68:69]
	v_mul_f64_e32 v[74:75], v[106:107], v[74:75]
	;; [unrolled: 1-line block ×7, first 2 shown]
	v_add_f64_e32 v[54:55], v[38:39], v[18:19]
	v_add_f64_e32 v[70:71], v[28:29], v[26:27]
	;; [unrolled: 1-line block ×4, first 2 shown]
	v_fma_f64 v[62:63], v[110:111], v[66:67], -v[36:37]
	v_mul_f64_e32 v[110:111], v[14:15], v[128:129]
	v_fma_f64 v[64:65], v[106:107], v[72:73], -v[40:41]
	v_fma_f64 v[36:37], v[96:97], v[76:77], -v[42:43]
	;; [unrolled: 1-line block ×3, first 2 shown]
	v_add_f64_e64 v[96:97], v[98:99], -v[44:45]
	v_add_f64_e64 v[106:107], v[46:47], -v[48:49]
	;; [unrolled: 1-line block ×4, first 2 shown]
	v_mul_f64_e32 v[42:43], v[2:3], v[137:138]
	v_mul_f64_e32 v[128:129], v[82:83], v[137:138]
	v_add_f64_e32 v[46:47], v[58:59], v[46:47]
	v_fma_f64 v[40:41], v[10:11], v[122:123], v[108:109]
	v_fma_f64 v[54:55], v[54:55], -0.5, v[6:7]
	v_fma_f64 v[124:125], v[70:71], -0.5, v[20:21]
	;; [unrolled: 1-line block ×3, first 2 shown]
	v_fma_f64 v[70:71], v[22:23], v[66:67], v[68:69]
	v_fma_f64 v[94:95], v[94:95], -0.5, v[58:59]
	v_fma_f64 v[22:23], v[30:31], v[72:73], v[74:75]
	v_fma_f64 v[68:69], v[16:17], v[76:77], v[78:79]
	;; [unrolled: 1-line block ×3, first 2 shown]
	v_fma_f64 v[78:79], v[86:87], v[122:123], -v[104:105]
	v_fma_f64 v[76:77], v[90:91], v[126:127], -v[110:111]
	v_fma_f64 v[30:31], v[14:15], v[126:127], v[120:121]
	v_add_f64_e32 v[72:73], v[62:63], v[64:65]
	v_add_f64_e32 v[74:75], v[36:37], v[60:61]
	;; [unrolled: 1-line block ×3, first 2 shown]
	v_fma_f64 v[82:83], v[82:83], v[135:136], -v[42:43]
	v_fma_f64 v[42:43], v[2:3], v[135:136], v[128:129]
	v_add_f64_e32 v[52:53], v[52:53], v[98:99]
	v_add_f64_e32 v[98:99], v[92:93], v[36:37]
	v_mul_f64_e32 v[110:111], v[88:89], v[145:146]
	v_add_f64_e32 v[46:47], v[46:47], v[48:49]
	s_wait_alu 0xfffe
	v_fma_f64 v[66:67], v[96:97], s[10:11], v[54:55]
	v_fma_f64 v[14:15], v[106:107], s[10:11], v[124:125]
	;; [unrolled: 1-line block ×5, first 2 shown]
	v_add_f64_e64 v[90:91], v[70:71], -v[22:23]
	v_mul_f64_e32 v[106:107], v[12:13], v[145:146]
	v_add_f64_e64 v[102:103], v[68:69], -v[16:17]
	v_add_f64_e32 v[58:59], v[78:79], v[76:77]
	v_add_f64_e32 v[104:105], v[40:41], v[30:31]
	v_fma_f64 v[108:109], v[72:73], -0.5, v[32:33]
	v_fma_f64 v[92:93], v[74:75], -0.5, v[92:93]
	v_fma_f64 v[74:75], v[50:51], s[4:5], v[56:57]
	v_fma_f64 v[32:33], v[100:101], s[4:5], v[94:95]
	;; [unrolled: 1-line block ×3, first 2 shown]
	v_mul_f64_e32 v[96:97], v[8:9], v[141:142]
	v_mul_f64_e32 v[100:101], v[84:85], v[141:142]
	v_add_f64_e64 v[118:119], v[40:41], -v[30:31]
	v_add_f64_e64 v[120:121], v[78:79], -v[76:77]
	v_add_f64_e32 v[86:87], v[86:87], v[64:65]
	v_add_f64_e32 v[122:123], v[52:53], v[44:45]
	;; [unrolled: 1-line block ×3, first 2 shown]
	v_fma_f64 v[44:45], v[12:13], v[143:144], v[110:111]
	v_mul_f64_e32 v[50:51], s[4:5], v[66:67]
	v_mul_f64_e32 v[56:57], s[4:5], v[14:15]
	v_mul_f64_e32 v[54:55], -0.5, v[24:25]
	v_mul_f64_e32 v[94:95], -0.5, v[10:11]
	v_fma_f64 v[48:49], v[58:59], -0.5, v[82:83]
	v_fma_f64 v[104:105], v[104:105], -0.5, v[42:43]
	v_fma_f64 v[124:125], v[90:91], s[4:5], v[108:109]
	v_fma_f64 v[90:91], v[90:91], s[10:11], v[108:109]
	;; [unrolled: 1-line block ×4, first 2 shown]
	v_fma_f64 v[52:53], v[84:85], v[139:140], -v[96:97]
	v_fma_f64 v[58:59], v[8:9], v[139:140], v[100:101]
	v_and_b32_e32 v84, 0xffff, v153
	v_and_b32_e32 v85, 0xffff, v154
	v_add_f64_e32 v[8:9], v[86:87], v[122:123]
	v_add_f64_e64 v[96:97], v[98:99], -v[46:47]
	v_add_f64_e64 v[12:13], v[86:87], -v[122:123]
	v_mad_u32_u24 v86, 0x1e0, v84, 0
	v_mad_u32_u24 v85, 0x1e0, v85, 0
	v_lshlrev_b32_e32 v87, 3, v155
	v_mul_lo_u16 v84, v157, 60
	s_delay_alu instid0(VALU_DEP_2)
	v_add3_u32 v87, v86, v87, v115
	v_fma_f64 v[108:109], v[74:75], 0.5, v[50:51]
	v_fma_f64 v[56:57], v[32:33], 0.5, v[56:57]
	v_fma_f64 v[126:127], v[72:73], s[4:5], v[54:55]
	v_fma_f64 v[54:55], v[88:89], v[143:144], -v[106:107]
	v_fma_f64 v[94:95], v[2:3], s[4:5], v[94:95]
	v_add_f64_e32 v[88:89], v[98:99], v[46:47]
	v_fma_f64 v[50:51], v[118:119], s[4:5], v[48:49]
	v_fma_f64 v[46:47], v[118:119], s[10:11], v[48:49]
	;; [unrolled: 1-line block ×3, first 2 shown]
	v_add_f64_e32 v[98:99], v[124:125], v[108:109]
	v_add_f64_e64 v[102:103], v[124:125], -v[108:109]
	v_add_f64_e32 v[106:107], v[128:129], v[56:57]
	v_add_f64_e64 v[110:111], v[128:129], -v[56:57]
	v_fma_f64 v[56:57], v[120:121], s[4:5], v[104:105]
	v_add_f64_e32 v[100:101], v[90:91], v[126:127]
	v_add_f64_e64 v[90:91], v[90:91], -v[126:127]
	v_add_f64_e32 v[108:109], v[92:93], v[94:95]
	v_add_f64_e64 v[92:93], v[92:93], -v[94:95]
	v_lshlrev_b32_e32 v94, 3, v156
	s_delay_alu instid0(VALU_DEP_1)
	v_add3_u32 v86, v85, v94, v115
	v_lshl_add_u32 v85, v158, 3, 0
	ds_store_2addr_b64 v87, v[8:9], v[98:99] offset1:10
	ds_store_2addr_b64 v87, v[100:101], v[12:13] offset0:20 offset1:30
	ds_store_2addr_b64 v87, v[102:103], v[90:91] offset0:40 offset1:50
	ds_store_2addr_b64 v86, v[88:89], v[106:107] offset1:10
	ds_store_2addr_b64 v86, v[108:109], v[96:97] offset0:20 offset1:30
	ds_store_2addr_b64 v86, v[110:111], v[92:93] offset0:40 offset1:50
	s_and_saveexec_b32 s1, s0
	s_cbranch_execz .LBB0_25
; %bb.24:
	v_add_f64_e32 v[8:9], v[52:53], v[54:55]
	v_add_f64_e64 v[12:13], v[58:59], -v[44:45]
	v_mul_f64_e32 v[88:89], -0.5, v[46:47]
	v_add_f64_e32 v[90:91], v[80:81], v[52:53]
	v_add_f64_e32 v[78:79], v[82:83], v[78:79]
	v_mul_f64_e32 v[82:83], s[4:5], v[48:49]
	v_fma_f64 v[8:9], v[8:9], -0.5, v[80:81]
	v_fma_f64 v[80:81], v[56:57], s[4:5], v[88:89]
	v_add_f64_e32 v[88:89], v[90:91], v[54:55]
	v_add_f64_e32 v[76:77], v[78:79], v[76:77]
	v_fma_f64 v[78:79], v[50:51], 0.5, v[82:83]
	v_fma_f64 v[82:83], v[12:13], s[10:11], v[8:9]
	v_fma_f64 v[8:9], v[12:13], s[4:5], v[8:9]
	s_delay_alu instid0(VALU_DEP_4) | instskip(SKIP_1) | instid1(VALU_DEP_4)
	v_add_f64_e64 v[12:13], v[88:89], -v[76:77]
	v_add_f64_e32 v[76:77], v[88:89], v[76:77]
	v_add_f64_e64 v[88:89], v[82:83], -v[80:81]
	s_delay_alu instid0(VALU_DEP_4) | instskip(SKIP_3) | instid1(VALU_DEP_1)
	v_add_f64_e32 v[90:91], v[8:9], v[78:79]
	v_add_f64_e32 v[80:81], v[82:83], v[80:81]
	v_add_f64_e64 v[8:9], v[8:9], -v[78:79]
	v_and_b32_e32 v78, 0xffff, v84
	v_lshlrev_b32_e32 v78, 3, v78
	s_delay_alu instid0(VALU_DEP_1)
	v_add3_u32 v78, v85, v78, v115
	ds_store_2addr_b64 v78, v[76:77], v[90:91] offset1:10
	ds_store_2addr_b64 v78, v[80:81], v[12:13] offset0:20 offset1:30
	ds_store_2addr_b64 v78, v[8:9], v[88:89] offset0:40 offset1:50
.LBB0_25:
	s_wait_alu 0xfffe
	s_or_b32 exec_lo, exec_lo, s1
	v_add_f64_e32 v[8:9], v[70:71], v[22:23]
	v_add_f64_e32 v[12:13], v[68:69], v[16:17]
	;; [unrolled: 1-line block ×3, first 2 shown]
	v_add_f64_e64 v[62:63], v[62:63], -v[64:65]
	v_add_f64_e32 v[6:7], v[6:7], v[38:39]
	v_mul_f64_e32 v[38:39], s[10:11], v[74:75]
	v_add_f64_e32 v[20:21], v[20:21], v[28:29]
	v_mul_f64_e32 v[28:29], -0.5, v[72:73]
	v_add_f64_e32 v[64:65], v[4:5], v[68:69]
	v_mul_f64_e32 v[32:33], s[10:11], v[32:33]
	v_mul_f64_e32 v[2:3], -0.5, v[2:3]
	global_wb scope:SCOPE_SE
	s_wait_dscnt 0x0
	s_barrier_signal -1
	s_barrier_wait -1
	global_inv scope:SCOPE_SE
	v_fma_f64 v[8:9], v[8:9], -0.5, v[34:35]
	v_add_f64_e64 v[34:35], v[36:37], -v[60:61]
	v_fma_f64 v[4:5], v[12:13], -0.5, v[4:5]
	v_add_f64_e32 v[12:13], v[70:71], v[22:23]
	v_add_f64_e32 v[6:7], v[6:7], v[18:19]
	v_fma_f64 v[18:19], v[66:67], 0.5, v[38:39]
	v_add_f64_e32 v[20:21], v[20:21], v[26:27]
	v_fma_f64 v[22:23], v[24:25], s[10:11], v[28:29]
	v_add_f64_e32 v[16:17], v[64:65], v[16:17]
	v_fma_f64 v[14:15], v[14:15], 0.5, v[32:33]
	v_fma_f64 v[2:3], v[10:11], s[10:11], v[2:3]
	v_add3_u32 v37, 0, v134, v115
	v_add_nc_u32_e32 v60, 0x1c00, v132
	s_delay_alu instid0(VALU_DEP_2)
	v_add_nc_u32_e32 v61, 0x400, v37
	v_add_nc_u32_e32 v39, 0xc00, v37
	;; [unrolled: 1-line block ×4, first 2 shown]
	v_fma_f64 v[24:25], v[62:63], s[10:11], v[8:9]
	v_fma_f64 v[8:9], v[62:63], s[4:5], v[8:9]
	;; [unrolled: 1-line block ×4, first 2 shown]
	v_add_f64_e32 v[65:66], v[12:13], v[6:7]
	v_add_f64_e64 v[67:68], v[12:13], -v[6:7]
	v_add_nc_u32_e32 v62, 0x2400, v37
	v_add_nc_u32_e32 v63, 0x2c00, v37
	v_add_f64_e32 v[69:70], v[16:17], v[20:21]
	v_add_f64_e64 v[71:72], v[16:17], -v[20:21]
	ds_load_b64 v[33:34], v133
	ds_load_b64 v[35:36], v132 offset:960
	v_add_f64_e32 v[73:74], v[24:25], v[18:19]
	v_add_f64_e32 v[75:76], v[8:9], v[22:23]
	v_add_f64_e64 v[77:78], v[24:25], -v[18:19]
	v_add_f64_e64 v[79:80], v[8:9], -v[22:23]
	v_add_f64_e32 v[81:82], v[10:11], v[14:15]
	v_add_f64_e32 v[88:89], v[4:5], v[2:3]
	v_add_f64_e64 v[90:91], v[10:11], -v[14:15]
	v_add_f64_e64 v[92:93], v[4:5], -v[2:3]
	ds_load_2addr_b64 v[18:21], v60 offset0:64 offset1:184
	ds_load_2addr_b64 v[26:29], v61 offset0:112 offset1:232
	;; [unrolled: 1-line block ×7, first 2 shown]
	global_wb scope:SCOPE_SE
	s_wait_dscnt 0x0
	s_barrier_signal -1
	s_barrier_wait -1
	global_inv scope:SCOPE_SE
	ds_store_2addr_b64 v87, v[65:66], v[73:74] offset1:10
	ds_store_2addr_b64 v87, v[75:76], v[67:68] offset0:20 offset1:30
	ds_store_2addr_b64 v87, v[77:78], v[79:80] offset0:40 offset1:50
	ds_store_2addr_b64 v86, v[69:70], v[81:82] offset1:10
	ds_store_2addr_b64 v86, v[88:89], v[71:72] offset0:20 offset1:30
	ds_store_2addr_b64 v86, v[90:91], v[92:93] offset0:40 offset1:50
	s_and_saveexec_b32 s1, s0
	s_cbranch_execz .LBB0_27
; %bb.26:
	v_add_f64_e32 v[65:66], v[58:59], v[44:45]
	s_mov_b32 s4, 0xe8584caa
	s_mov_b32 s5, 0xbfebb67a
	v_add_f64_e32 v[58:59], v[0:1], v[58:59]
	v_add_f64_e64 v[52:53], v[52:53], -v[54:55]
	v_add_f64_e32 v[40:41], v[42:43], v[40:41]
	v_mul_f64_e32 v[42:43], -0.5, v[56:57]
	s_wait_alu 0xfffe
	v_mul_f64_e32 v[50:51], s[4:5], v[50:51]
	s_mov_b32 s11, 0x3febb67a
	s_mov_b32 s10, s4
	v_and_b32_e32 v32, 0xffff, v84
	s_delay_alu instid0(VALU_DEP_1) | instskip(NEXT) | instid1(VALU_DEP_1)
	v_lshlrev_b32_e32 v32, 3, v32
	v_add3_u32 v32, v85, v32, v115
	v_fma_f64 v[0:1], v[65:66], -0.5, v[0:1]
	v_add_f64_e32 v[44:45], v[58:59], v[44:45]
	v_add_f64_e32 v[30:31], v[40:41], v[30:31]
	v_fma_f64 v[40:41], v[46:47], s[4:5], v[42:43]
	v_fma_f64 v[42:43], v[48:49], 0.5, v[50:51]
	v_fma_f64 v[46:47], v[52:53], s[4:5], v[0:1]
	s_wait_alu 0xfffe
	v_fma_f64 v[0:1], v[52:53], s[10:11], v[0:1]
	v_add_f64_e32 v[48:49], v[44:45], v[30:31]
	v_add_f64_e64 v[30:31], v[44:45], -v[30:31]
	s_delay_alu instid0(VALU_DEP_4) | instskip(NEXT) | instid1(VALU_DEP_4)
	v_add_f64_e32 v[44:45], v[46:47], v[42:43]
	v_add_f64_e32 v[50:51], v[0:1], v[40:41]
	v_add_f64_e64 v[42:43], v[46:47], -v[42:43]
	v_add_f64_e64 v[0:1], v[0:1], -v[40:41]
	ds_store_2addr_b64 v32, v[48:49], v[44:45] offset1:10
	ds_store_2addr_b64 v32, v[50:51], v[30:31] offset0:20 offset1:30
	ds_store_2addr_b64 v32, v[42:43], v[0:1] offset0:40 offset1:50
.LBB0_27:
	s_wait_alu 0xfffe
	s_or_b32 exec_lo, exec_lo, s1
	v_subrev_nc_u32_e32 v0, 60, v114
	v_cmp_gt_u32_e64 s0, 60, v114
	v_mov_b32_e32 v32, 0
	global_wb scope:SCOPE_SE
	s_wait_dscnt 0x0
	s_barrier_signal -1
	s_barrier_wait -1
	s_wait_alu 0xf1ff
	v_cndmask_b32_e64 v0, v0, v114, s0
	global_inv scope:SCOPE_SE
	s_mov_b32 s4, 0x667f3bcd
	s_mov_b32 s5, 0xbfe6a09e
	;; [unrolled: 1-line block ×3, first 2 shown]
	v_mul_i32_i24_e32 v31, 15, v0
	s_mov_b32 s10, 0xcf328d46
	s_mov_b32 s11, 0xbfed906b
	;; [unrolled: 1-line block ×3, first 2 shown]
	s_wait_alu 0xfffe
	s_mov_b32 s16, s10
	v_lshlrev_b64_e32 v[30:31], 4, v[31:32]
	s_mov_b32 s12, 0xa6aea964
	s_mov_b32 s13, 0xbfd87de2
	;; [unrolled: 1-line block ×3, first 2 shown]
	s_wait_alu 0xfffe
	s_mov_b32 s14, s12
	v_add_co_u32 v30, s0, s8, v30
	s_wait_alu 0xf1ff
	v_add_co_ci_u32_e64 v31, s0, s9, v31, s0
	s_mov_b32 s0, s4
	s_clause 0xe
	global_load_b128 v[40:43], v[30:31], off offset:800
	global_load_b128 v[44:47], v[30:31], off offset:816
	;; [unrolled: 1-line block ×15, first 2 shown]
	ds_load_b64 v[30:31], v132 offset:960
	ds_load_2addr_b64 v[105:108], v61 offset0:112 offset1:232
	ds_load_2addr_b64 v[118:121], v60 offset0:64 offset1:184
	ds_load_b64 v[109:110], v133
	ds_load_2addr_b64 v[122:125], v62 offset0:48 offset1:168
	ds_load_2addr_b64 v[126:129], v39 offset0:96 offset1:216
	;; [unrolled: 1-line block ×4, first 2 shown]
	s_wait_loadcnt_dscnt 0xe07
	v_mul_f64_e32 v[130:131], v[30:31], v[42:43]
	v_mul_f64_e32 v[42:43], v[35:36], v[42:43]
	s_wait_loadcnt_dscnt 0xd06
	v_mul_f64_e32 v[142:143], v[105:106], v[46:47]
	s_wait_loadcnt 0xb
	v_mul_f64_e32 v[146:147], v[14:15], v[54:55]
	s_wait_loadcnt 0xa
	;; [unrolled: 2-line block ×4, first 2 shown]
	v_mul_f64_e32 v[152:153], v[12:13], v[71:72]
	s_wait_loadcnt_dscnt 0x705
	v_mul_f64_e32 v[154:155], v[118:119], v[75:76]
	s_wait_loadcnt 0x6
	v_mul_f64_e32 v[156:157], v[120:121], v[79:80]
	v_mul_f64_e32 v[144:145], v[107:108], v[50:51]
	s_wait_loadcnt_dscnt 0x503
	v_mul_f64_e32 v[158:159], v[122:123], v[83:84]
	s_wait_loadcnt 0x4
	v_mul_f64_e32 v[160:161], v[124:125], v[87:88]
	s_wait_loadcnt 0x3
	;; [unrolled: 2-line block ×3, first 2 shown]
	v_mul_f64_e32 v[164:165], v[8:9], v[95:96]
	s_wait_dscnt 0x1
	v_mul_f64_e32 v[67:68], v[134:135], v[67:68]
	v_mul_f64_e32 v[71:72], v[136:137], v[71:72]
	;; [unrolled: 1-line block ×6, first 2 shown]
	s_wait_dscnt 0x0
	v_mul_f64_e32 v[91:92], v[138:139], v[91:92]
	v_mul_f64_e32 v[95:96], v[140:141], v[95:96]
	v_fma_f64 v[35:36], v[35:36], v[40:41], -v[130:131]
	s_wait_loadcnt 0x1
	v_mul_f64_e32 v[130:131], v[2:3], v[99:100]
	v_fma_f64 v[30:31], v[30:31], v[40:41], v[42:43]
	s_wait_loadcnt 0x0
	v_mul_f64_e32 v[40:41], v[4:5], v[103:104]
	v_mul_f64_e32 v[42:43], v[26:27], v[46:47]
	;; [unrolled: 1-line block ×3, first 2 shown]
	v_fma_f64 v[26:27], v[26:27], v[44:45], -v[142:143]
	v_mul_f64_e32 v[50:51], v[126:127], v[54:55]
	v_mul_f64_e32 v[54:55], v[128:129], v[58:59]
	v_fma_f64 v[58:59], v[126:127], v[52:53], v[146:147]
	v_fma_f64 v[126:127], v[128:129], v[56:57], v[148:149]
	v_fma_f64 v[128:129], v[134:135], v[65:66], v[150:151]
	v_fma_f64 v[134:135], v[136:137], v[69:70], v[152:153]
	v_fma_f64 v[136:137], v[18:19], v[73:74], -v[154:155]
	v_fma_f64 v[142:143], v[20:21], v[77:78], -v[156:157]
	ds_load_2addr_b64 v[18:21], v64 offset0:16 offset1:136
	v_fma_f64 v[28:29], v[28:29], v[48:49], -v[144:145]
	v_fma_f64 v[22:23], v[22:23], v[81:82], -v[158:159]
	;; [unrolled: 1-line block ×3, first 2 shown]
	v_fma_f64 v[138:139], v[138:139], v[89:90], v[162:163]
	v_fma_f64 v[140:141], v[140:141], v[93:94], v[164:165]
	v_fma_f64 v[10:11], v[10:11], v[65:66], -v[67:68]
	v_fma_f64 v[12:13], v[12:13], v[69:70], -v[71:72]
	;; [unrolled: 1-line block ×4, first 2 shown]
	global_wb scope:SCOPE_SE
	s_wait_dscnt 0x0
	s_barrier_signal -1
	s_barrier_wait -1
	global_inv scope:SCOPE_SE
	v_fma_f64 v[130:131], v[18:19], v[97:98], v[130:131]
	v_mul_f64_e32 v[18:19], v[18:19], v[99:100]
	v_fma_f64 v[40:41], v[20:21], v[101:102], v[40:41]
	v_mul_f64_e32 v[20:21], v[20:21], v[103:104]
	v_fma_f64 v[42:43], v[105:106], v[44:45], v[42:43]
	v_fma_f64 v[44:45], v[107:108], v[48:49], v[46:47]
	v_fma_f64 v[14:15], v[14:15], v[52:53], -v[50:51]
	v_fma_f64 v[16:17], v[16:17], v[56:57], -v[54:55]
	v_fma_f64 v[46:47], v[118:119], v[73:74], v[75:76]
	v_fma_f64 v[48:49], v[122:123], v[81:82], v[83:84]
	;; [unrolled: 1-line block ×3, first 2 shown]
	v_add_f64_e64 v[56:57], v[35:36], -v[142:143]
	v_add_f64_e64 v[22:23], v[26:27], -v[22:23]
	;; [unrolled: 1-line block ×6, first 2 shown]
	v_fma_f64 v[1:2], v[2:3], v[97:98], -v[18:19]
	v_fma_f64 v[18:19], v[120:121], v[77:78], v[79:80]
	v_fma_f64 v[3:4], v[4:5], v[101:102], -v[20:21]
	v_add_f64_e64 v[20:21], v[33:34], -v[136:137]
	v_add_f64_e64 v[40:41], v[134:135], -v[40:41]
	;; [unrolled: 1-line block ×7, first 2 shown]
	v_fma_f64 v[35:36], v[35:36], 2.0, -v[56:57]
	v_add_f64_e64 v[71:72], v[56:57], -v[65:66]
	v_add_f64_e64 v[69:70], v[22:23], -v[54:55]
	;; [unrolled: 1-line block ×7, first 2 shown]
	v_fma_f64 v[33:34], v[33:34], 2.0, -v[20:21]
	v_add_f64_e32 v[75:76], v[46:47], v[5:6]
	v_fma_f64 v[5:6], v[14:15], 2.0, -v[5:6]
	v_fma_f64 v[14:15], v[26:27], 2.0, -v[22:23]
	;; [unrolled: 1-line block ×5, first 2 shown]
	v_add_f64_e32 v[77:78], v[48:49], v[1:2]
	v_add_f64_e32 v[79:80], v[18:19], v[7:8]
	;; [unrolled: 1-line block ×3, first 2 shown]
	v_fma_f64 v[1:2], v[10:11], 2.0, -v[1:2]
	v_fma_f64 v[9:10], v[128:129], 2.0, -v[54:55]
	;; [unrolled: 1-line block ×14, first 2 shown]
	v_add_f64_e64 v[5:6], v[33:34], -v[5:6]
	s_wait_alu 0xfffe
	v_fma_f64 v[54:55], v[69:70], s[0:1], v[67:68]
	v_fma_f64 v[56:57], v[73:74], s[0:1], v[71:72]
	v_fma_f64 v[48:49], v[48:49], 2.0, -v[77:78]
	v_fma_f64 v[18:19], v[18:19], 2.0, -v[79:80]
	;; [unrolled: 1-line block ×3, first 2 shown]
	v_add_f64_e64 v[1:2], v[14:15], -v[1:2]
	v_add_f64_e64 v[9:10], v[26:27], -v[9:10]
	v_add_f64_e64 v[7:8], v[35:36], -v[7:8]
	v_fma_f64 v[83:84], v[77:78], s[0:1], v[75:76]
	v_fma_f64 v[89:90], v[81:82], s[0:1], v[79:80]
	v_add_f64_e64 v[3:4], v[16:17], -v[3:4]
	v_add_f64_e64 v[11:12], v[28:29], -v[11:12]
	v_fma_f64 v[58:59], v[22:23], s[4:5], v[20:21]
	v_fma_f64 v[65:66], v[24:25], s[4:5], v[40:41]
	v_add_f64_e64 v[44:45], v[42:43], -v[44:45]
	v_add_f64_e64 v[52:53], v[30:31], -v[52:53]
	v_fma_f64 v[33:34], v[33:34], 2.0, -v[5:6]
	v_fma_f64 v[54:55], v[77:78], s[4:5], v[54:55]
	v_fma_f64 v[56:57], v[81:82], s[4:5], v[56:57]
	;; [unrolled: 1-line block ×4, first 2 shown]
	v_fma_f64 v[13:14], v[14:15], 2.0, -v[1:2]
	v_add_f64_e64 v[91:92], v[5:6], -v[9:10]
	v_fma_f64 v[35:36], v[35:36], 2.0, -v[7:8]
	v_fma_f64 v[9:10], v[26:27], 2.0, -v[9:10]
	;; [unrolled: 1-line block ×3, first 2 shown]
	v_add_f64_e64 v[77:78], v[7:8], -v[11:12]
	v_fma_f64 v[48:49], v[48:49], s[4:5], v[58:59]
	v_fma_f64 v[11:12], v[28:29], 2.0, -v[11:12]
	v_fma_f64 v[50:51], v[50:51], s[4:5], v[65:66]
	v_fma_f64 v[42:43], v[42:43], 2.0, -v[44:45]
	v_add_f64_e32 v[1:2], v[44:45], v[1:2]
	v_fma_f64 v[26:27], v[30:31], 2.0, -v[52:53]
	v_fma_f64 v[30:31], v[69:70], s[0:1], v[83:84]
	v_add_f64_e32 v[3:4], v[52:53], v[3:4]
	v_fma_f64 v[28:29], v[73:74], s[0:1], v[89:90]
	v_fma_f64 v[58:59], v[67:68], 2.0, -v[54:55]
	v_fma_f64 v[65:66], v[71:72], 2.0, -v[56:57]
	v_fma_f64 v[73:74], v[56:57], s[16:17], v[54:55]
	v_fma_f64 v[22:23], v[22:23], s[0:1], v[85:86]
	;; [unrolled: 1-line block ×3, first 2 shown]
	v_add_f64_e64 v[13:14], v[33:34], -v[13:14]
	v_fma_f64 v[5:6], v[5:6], 2.0, -v[91:92]
	v_add_f64_e64 v[15:16], v[35:36], -v[15:16]
	v_fma_f64 v[7:8], v[7:8], 2.0, -v[77:78]
	v_fma_f64 v[20:21], v[20:21], 2.0, -v[48:49]
	v_fma_f64 v[71:72], v[77:78], s[0:1], v[91:92]
	v_fma_f64 v[40:41], v[40:41], 2.0, -v[50:51]
	v_add_f64_e64 v[9:10], v[42:43], -v[9:10]
	v_fma_f64 v[44:45], v[44:45], 2.0, -v[1:2]
	v_add_f64_e64 v[11:12], v[26:27], -v[11:12]
	v_fma_f64 v[67:68], v[75:76], 2.0, -v[30:31]
	v_fma_f64 v[52:53], v[52:53], 2.0, -v[3:4]
	;; [unrolled: 1-line block ×3, first 2 shown]
	v_fma_f64 v[81:82], v[50:51], s[14:15], v[48:49]
	v_fma_f64 v[79:80], v[65:66], s[12:13], v[58:59]
	;; [unrolled: 1-line block ×5, first 2 shown]
	v_fma_f64 v[46:47], v[46:47], 2.0, -v[22:23]
	v_fma_f64 v[17:18], v[18:19], 2.0, -v[24:25]
	;; [unrolled: 1-line block ×3, first 2 shown]
	v_fma_f64 v[97:98], v[24:25], s[14:15], v[22:23]
	v_fma_f64 v[35:36], v[35:36], 2.0, -v[15:16]
	v_fma_f64 v[75:76], v[7:8], s[4:5], v[5:6]
	v_fma_f64 v[3:4], v[3:4], s[4:5], v[71:72]
	;; [unrolled: 1-line block ×3, first 2 shown]
	v_fma_f64 v[42:43], v[42:43], 2.0, -v[9:10]
	v_add_f64_e32 v[71:72], v[9:10], v[15:16]
	v_fma_f64 v[26:27], v[26:27], 2.0, -v[11:12]
	v_add_f64_e64 v[11:12], v[13:14], -v[11:12]
	v_fma_f64 v[89:90], v[52:53], s[4:5], v[44:45]
	v_fma_f64 v[95:96], v[69:70], s[12:13], v[67:68]
	;; [unrolled: 1-line block ×6, first 2 shown]
	v_fma_f64 v[15:16], v[54:55], 2.0, -v[28:29]
	v_fma_f64 v[93:94], v[17:18], s[10:11], v[46:47]
	v_fma_f64 v[50:51], v[50:51], s[16:17], v[97:98]
	v_add_f64_e64 v[35:36], v[33:34], -v[35:36]
	v_fma_f64 v[52:53], v[52:53], s[4:5], v[75:76]
	v_fma_f64 v[17:18], v[17:18], s[12:13], v[83:84]
	v_fma_f64 v[54:55], v[9:10], 2.0, -v[71:72]
	v_add_f64_e64 v[75:76], v[42:43], -v[26:27]
	v_fma_f64 v[13:14], v[13:14], 2.0, -v[11:12]
	v_fma_f64 v[77:78], v[7:8], s[0:1], v[89:90]
	v_fma_f64 v[65:66], v[65:66], s[16:17], v[95:96]
	v_cmp_lt_u32_e64 s0, 59, v114
	v_fma_f64 v[26:27], v[58:59], 2.0, -v[69:70]
	v_fma_f64 v[48:49], v[48:49], 2.0, -v[24:25]
	;; [unrolled: 1-line block ×4, first 2 shown]
	s_wait_alu 0xf1ff
	v_cndmask_b32_e64 v7, 0, 0x3c0, s0
	s_delay_alu instid0(VALU_DEP_1) | instskip(SKIP_1) | instid1(VALU_DEP_2)
	v_or_b32_e32 v0, v7, v0
	v_fma_f64 v[7:8], v[91:92], 2.0, -v[3:4]
	v_lshlrev_b32_e32 v0, 3, v0
	s_delay_alu instid0(VALU_DEP_1) | instskip(SKIP_2) | instid1(VALU_DEP_3)
	v_add3_u32 v81, 0, v0, v115
	v_fma_f64 v[40:41], v[40:41], s[14:15], v[93:94]
	v_fma_f64 v[79:80], v[22:23], 2.0, -v[50:51]
	v_add_nc_u32_e32 v83, 0x800, v81
	v_add_nc_u32_e32 v87, 0x1800, v81
	v_fma_f64 v[33:34], v[33:34], 2.0, -v[35:36]
	v_fma_f64 v[5:6], v[5:6], 2.0, -v[52:53]
	v_add_nc_u32_e32 v85, 0x1000, v81
	v_add_nc_u32_e32 v86, 0x1400, v81
	v_fma_f64 v[19:20], v[20:21], 2.0, -v[17:18]
	v_add_nc_u32_e32 v82, 0x400, v81
	v_add_nc_u32_e32 v84, 0xc00, v81
	v_fma_f64 v[42:43], v[42:43], 2.0, -v[75:76]
	ds_store_2addr_b64 v87, v[3:4], v[28:29] offset0:72 offset1:132
	ds_store_2addr_b64 v83, v[7:8], v[15:16] offset0:104 offset1:164
	;; [unrolled: 1-line block ×7, first 2 shown]
	ds_store_2addr_b64 v81, v[33:34], v[19:20] offset1:60
	v_fma_f64 v[46:47], v[46:47], 2.0, -v[40:41]
	v_fma_f64 v[44:45], v[44:45], 2.0, -v[77:78]
	;; [unrolled: 1-line block ×3, first 2 shown]
	global_wb scope:SCOPE_SE
	s_wait_dscnt 0x0
	s_barrier_signal -1
	s_barrier_wait -1
	global_inv scope:SCOPE_SE
	ds_load_2addr_b64 v[12:15], v60 offset0:64 offset1:184
	ds_load_b64 v[35:36], v133
	ds_load_b64 v[33:34], v132 offset:960
	ds_load_2addr_b64 v[8:11], v61 offset0:112 offset1:232
	ds_load_2addr_b64 v[16:19], v62 offset0:48 offset1:168
	;; [unrolled: 1-line block ×6, first 2 shown]
	global_wb scope:SCOPE_SE
	s_wait_dscnt 0x0
	s_barrier_signal -1
	s_barrier_wait -1
	global_inv scope:SCOPE_SE
	ds_store_2addr_b64 v81, v[42:43], v[46:47] offset1:60
	ds_store_2addr_b64 v81, v[44:45], v[67:68] offset0:120 offset1:180
	ds_store_2addr_b64 v82, v[54:55], v[79:80] offset0:112 offset1:172
	;; [unrolled: 1-line block ×7, first 2 shown]
	global_wb scope:SCOPE_SE
	s_wait_dscnt 0x0
	s_barrier_signal -1
	s_barrier_wait -1
	global_inv scope:SCOPE_SE
	s_and_saveexec_b32 s0, vcc_lo
	s_cbranch_execz .LBB0_29
; %bb.28:
	v_dual_mov_b32 v115, v32 :: v_dual_add_nc_u32 v66, 0x1400, v37
	v_add_nc_u32_e32 v70, 0x3400, v37
	v_add_nc_u32_e32 v74, 0xc00, v37
	v_mul_hi_u32 v104, 0x88888889, v114
	s_delay_alu instid0(VALU_DEP_4)
	v_lshlrev_b64_e32 v[28:29], 4, v[114:115]
	v_add_nc_u32_e32 v105, 0x78, v114
	v_add_nc_u32_e32 v106, 0xf0, v114
	;; [unrolled: 1-line block ×5, first 2 shown]
	v_add_co_u32 v62, vcc_lo, s8, v28
	s_wait_alu 0xfffd
	v_add_co_ci_u32_e32 v63, vcc_lo, s9, v29, vcc_lo
	v_mul_lo_u32 v102, s3, v116
	v_mul_lo_u32 v103, s2, v117
	v_mad_co_u64_u32 v[94:95], null, s2, v116, 0
	s_clause 0x7
	global_load_b128 v[28:31], v[62:63], off offset:28640
	global_load_b128 v[38:41], v[62:63], off offset:26720
	;; [unrolled: 1-line block ×8, first 2 shown]
	v_add_nc_u32_e32 v82, 0x400, v37
	v_add_nc_u32_e32 v90, 0x1c00, v132
	;; [unrolled: 1-line block ×3, first 2 shown]
	ds_load_b64 v[96:97], v132 offset:960
	ds_load_b64 v[98:99], v133
	ds_load_2addr_b64 v[66:69], v66 offset0:80 offset1:200
	ds_load_2addr_b64 v[70:73], v70 offset0:16 offset1:136
	;; [unrolled: 1-line block ×7, first 2 shown]
	v_add_nc_u32_e32 v118, 0x258, v114
	v_add_nc_u32_e32 v119, 0x2d0, v114
	v_mul_hi_u32 v37, 0x88888889, v105
	v_mul_hi_u32 v109, 0x88888889, v106
	;; [unrolled: 1-line block ×4, first 2 shown]
	v_lshrrev_b32_e32 v104, 9, v104
	v_add3_u32 v95, v95, v103, v102
	v_mul_hi_u32 v102, 0x88888889, v118
	v_mul_hi_u32 v103, 0x88888889, v119
	v_lshrrev_b32_e32 v37, 9, v37
	v_mul_u32_u24_e32 v104, 0x3c0, v104
	v_lshrrev_b32_e32 v122, 9, v109
	v_lshrrev_b32_e32 v124, 9, v110
	v_lshrrev_b32_e32 v125, 9, v111
	v_add_nc_u32_e32 v120, 0x348, v114
	v_lshlrev_b64_e32 v[94:95], 4, v[94:95]
	v_lshrrev_b32_e32 v126, 9, v102
	v_lshrrev_b32_e32 v127, 9, v103
	v_sub_nc_u32_e32 v102, v114, v104
	v_mul_u32_u24_e32 v103, 0x3c0, v37
	v_mul_u32_u24_e32 v104, 0x3c0, v122
	v_mul_u32_u24_e32 v109, 0x3c0, v124
	v_mul_u32_u24_e32 v110, 0x3c0, v125
	v_lshlrev_b64_e32 v[100:101], 4, v[112:113]
	v_mul_hi_u32 v112, 0x88888889, v120
	v_add_co_u32 v130, vcc_lo, s6, v94
	s_wait_alu 0xfffd
	v_add_co_ci_u32_e32 v131, vcc_lo, s7, v95, vcc_lo
	v_lshlrev_b32_e32 v132, 4, v102
	v_sub_nc_u32_e32 v133, v105, v103
	v_sub_nc_u32_e32 v134, v106, v104
	;; [unrolled: 1-line block ×4, first 2 shown]
	v_lshrrev_b32_e32 v128, 9, v112
	v_add_co_u32 v130, vcc_lo, v130, v100
	v_mul_u32_u24_e32 v121, 0x3c0, v126
	s_wait_alu 0xfffd
	v_add_co_ci_u32_e32 v131, vcc_lo, v131, v101, vcc_lo
	v_mul_u32_u24_e32 v129, 0x3c0, v128
	v_mul_u32_u24_e32 v123, 0x3c0, v127
	s_delay_alu instid0(VALU_DEP_2) | instskip(NEXT) | instid1(VALU_DEP_2)
	v_sub_nc_u32_e32 v129, v120, v129
	v_sub_nc_u32_e32 v137, v119, v123
	s_wait_loadcnt 0x7
	v_mul_f64_e32 v[94:95], v[26:27], v[30:31]
	s_wait_dscnt 0x5
	v_mul_f64_e32 v[102:103], v[72:73], v[30:31]
	s_wait_loadcnt 0x6
	v_mul_f64_e32 v[104:105], v[24:25], v[40:41]
	v_mul_f64_e32 v[40:41], v[70:71], v[40:41]
	s_wait_loadcnt 0x5
	v_mul_f64_e32 v[106:107], v[22:23], v[44:45]
	s_wait_dscnt 0x3
	v_mul_f64_e32 v[44:45], v[80:81], v[44:45]
	s_wait_loadcnt 0x4
	v_mul_f64_e32 v[108:109], v[12:13], v[48:49]
	s_wait_dscnt 0x0
	v_mul_f64_e32 v[48:49], v[90:91], v[48:49]
	s_wait_loadcnt 0x3
	v_mul_f64_e32 v[110:111], v[14:15], v[52:53]
	v_mul_f64_e32 v[52:53], v[92:93], v[52:53]
	s_wait_loadcnt 0x2
	v_mul_f64_e32 v[112:113], v[16:17], v[56:57]
	;; [unrolled: 3-line block ×4, first 2 shown]
	v_mul_f64_e32 v[64:65], v[78:79], v[64:65]
	v_mad_u32_u24 v31, 0x780, v37, v133
	v_sub_nc_u32_e32 v30, v118, v121
	v_add_co_u32 v118, vcc_lo, v130, v132
	s_wait_alu 0xfffd
	v_add_co_ci_u32_e32 v119, vcc_lo, 0, v131, vcc_lo
	v_lshlrev_b64_e32 v[100:101], 4, v[31:32]
	v_add_nc_u32_e32 v31, 0x3c0, v31
	s_delay_alu instid0(VALU_DEP_1) | instskip(SKIP_1) | instid1(VALU_DEP_4)
	v_lshlrev_b64_e32 v[120:121], 4, v[31:32]
	v_mad_u32_u24 v31, 0x780, v122, v134
	v_add_co_u32 v100, vcc_lo, v130, v100
	s_wait_alu 0xfffd
	v_add_co_ci_u32_e32 v101, vcc_lo, v131, v101, vcc_lo
	s_delay_alu instid0(VALU_DEP_3)
	v_lshlrev_b64_e32 v[122:123], 4, v[31:32]
	v_add_nc_u32_e32 v31, 0x3c0, v31
	v_fma_f64 v[72:73], v[72:73], v[28:29], v[94:95]
	v_fma_f64 v[26:27], v[26:27], v[28:29], -v[102:103]
	v_fma_f64 v[28:29], v[70:71], v[38:39], v[104:105]
	v_fma_f64 v[24:25], v[24:25], v[38:39], -v[40:41]
	;; [unrolled: 2-line block ×8, first 2 shown]
	v_add_co_u32 v78, vcc_lo, v130, v120
	v_lshlrev_b64_e32 v[12:13], 4, v[31:32]
	v_mad_u32_u24 v31, 0x780, v124, v135
	s_wait_alu 0xfffd
	v_add_co_ci_u32_e32 v79, vcc_lo, v131, v121, vcc_lo
	v_add_co_u32 v86, vcc_lo, v130, v122
	s_wait_alu 0xfffd
	v_add_co_ci_u32_e32 v87, vcc_lo, v131, v123, vcc_lo
	v_lshlrev_b64_e32 v[14:15], 4, v[31:32]
	v_add_co_u32 v88, vcc_lo, v130, v12
	s_wait_alu 0xfffd
	v_add_co_ci_u32_e32 v89, vcc_lo, v131, v13, vcc_lo
	v_add_nc_u32_e32 v31, 0x3c0, v31
	s_delay_alu instid0(VALU_DEP_4) | instskip(SKIP_2) | instid1(VALU_DEP_3)
	v_add_co_u32 v90, vcc_lo, v130, v14
	s_wait_alu 0xfffd
	v_add_co_ci_u32_e32 v91, vcc_lo, v131, v15, vcc_lo
	v_lshlrev_b64_e32 v[55:56], 4, v[31:32]
	v_mad_u32_u24 v31, 0x780, v125, v136
	v_add_f64_e64 v[14:15], v[68:69], -v[72:73]
	v_add_f64_e64 v[12:13], v[6:7], -v[26:27]
	v_add_f64_e64 v[18:19], v[66:67], -v[28:29]
	v_add_f64_e64 v[16:17], v[4:5], -v[24:25]
	v_lshlrev_b64_e32 v[57:58], 4, v[31:32]
	v_add_nc_u32_e32 v31, 0x3c0, v31
	v_add_f64_e64 v[22:23], v[98:99], -v[22:23]
	v_add_f64_e64 v[20:21], v[35:36], -v[37:38]
	;; [unrolled: 1-line block ×12, first 2 shown]
	v_add_co_u32 v28, vcc_lo, v130, v55
	v_lshlrev_b64_e32 v[53:54], 4, v[31:32]
	v_mad_u32_u24 v31, 0x780, v126, v30
	s_wait_alu 0xfffd
	v_add_co_ci_u32_e32 v29, vcc_lo, v131, v56, vcc_lo
	v_add_co_u32 v80, vcc_lo, v130, v57
	s_wait_alu 0xfffd
	v_add_co_ci_u32_e32 v81, vcc_lo, v131, v58, vcc_lo
	v_lshlrev_b64_e32 v[55:56], 4, v[31:32]
	v_add_co_u32 v92, vcc_lo, v130, v53
	v_add_nc_u32_e32 v31, 0x3c0, v31
	s_wait_alu 0xfffd
	v_add_co_ci_u32_e32 v93, vcc_lo, v131, v54, vcc_lo
	s_delay_alu instid0(VALU_DEP_4)
	v_add_co_u32 v102, vcc_lo, v130, v55
	s_wait_alu 0xfffd
	v_add_co_ci_u32_e32 v103, vcc_lo, v131, v56, vcc_lo
	v_fma_f64 v[55:56], v[68:69], 2.0, -v[14:15]
	v_fma_f64 v[53:54], v[6:7], 2.0, -v[12:13]
	v_lshlrev_b64_e32 v[94:95], 4, v[31:32]
	v_mad_u32_u24 v31, 0x780, v127, v137
	v_fma_f64 v[59:60], v[98:99], 2.0, -v[22:23]
	v_fma_f64 v[57:58], v[35:36], 2.0, -v[20:21]
	;; [unrolled: 1-line block ×14, first 2 shown]
	v_lshlrev_b64_e32 v[104:105], 4, v[31:32]
	v_add_nc_u32_e32 v31, 0x3c0, v31
	v_add_co_u32 v4, vcc_lo, v130, v94
	s_wait_alu 0xfffd
	v_add_co_ci_u32_e32 v5, vcc_lo, v131, v95, vcc_lo
	s_delay_alu instid0(VALU_DEP_3) | instskip(SKIP_4) | instid1(VALU_DEP_3)
	v_lshlrev_b64_e32 v[10:11], 4, v[31:32]
	v_mad_u32_u24 v31, 0x780, v128, v129
	v_add_co_u32 v65, vcc_lo, v130, v104
	s_wait_alu 0xfffd
	v_add_co_ci_u32_e32 v66, vcc_lo, v131, v105, vcc_lo
	v_lshlrev_b64_e32 v[76:77], 4, v[31:32]
	v_add_nc_u32_e32 v31, 0x3c0, v31
	v_add_co_u32 v10, vcc_lo, v130, v10
	s_wait_alu 0xfffd
	v_add_co_ci_u32_e32 v11, vcc_lo, v131, v11, vcc_lo
	s_delay_alu instid0(VALU_DEP_3) | instskip(SKIP_3) | instid1(VALU_DEP_3)
	v_lshlrev_b64_e32 v[30:31], 4, v[31:32]
	v_add_co_u32 v76, vcc_lo, v130, v76
	s_wait_alu 0xfffd
	v_add_co_ci_u32_e32 v77, vcc_lo, v131, v77, vcc_lo
	v_add_co_u32 v30, vcc_lo, v130, v30
	s_wait_alu 0xfffd
	v_add_co_ci_u32_e32 v31, vcc_lo, v131, v31, vcc_lo
	s_clause 0xf
	global_store_b128 v[118:119], v[57:60], off
	global_store_b128 v[118:119], v[20:23], off offset:15360
	global_store_b128 v[100:101], v[33:36], off
	global_store_b128 v[78:79], v[24:27], off
	;; [unrolled: 1-line block ×14, first 2 shown]
.LBB0_29:
	s_nop 0
	s_sendmsg sendmsg(MSG_DEALLOC_VGPRS)
	s_endpgm
	.section	.rodata,"a",@progbits
	.p2align	6, 0x0
	.amdhsa_kernel fft_rtc_fwd_len1920_factors_10_6_16_2_wgs_240_tpt_120_halfLds_dp_op_CI_CI_unitstride_sbrr_dirReg
		.amdhsa_group_segment_fixed_size 0
		.amdhsa_private_segment_fixed_size 0
		.amdhsa_kernarg_size 104
		.amdhsa_user_sgpr_count 2
		.amdhsa_user_sgpr_dispatch_ptr 0
		.amdhsa_user_sgpr_queue_ptr 0
		.amdhsa_user_sgpr_kernarg_segment_ptr 1
		.amdhsa_user_sgpr_dispatch_id 0
		.amdhsa_user_sgpr_private_segment_size 0
		.amdhsa_wavefront_size32 1
		.amdhsa_uses_dynamic_stack 0
		.amdhsa_enable_private_segment 0
		.amdhsa_system_sgpr_workgroup_id_x 1
		.amdhsa_system_sgpr_workgroup_id_y 0
		.amdhsa_system_sgpr_workgroup_id_z 0
		.amdhsa_system_sgpr_workgroup_info 0
		.amdhsa_system_vgpr_workitem_id 0
		.amdhsa_next_free_vgpr 168
		.amdhsa_next_free_sgpr 39
		.amdhsa_reserve_vcc 1
		.amdhsa_float_round_mode_32 0
		.amdhsa_float_round_mode_16_64 0
		.amdhsa_float_denorm_mode_32 3
		.amdhsa_float_denorm_mode_16_64 3
		.amdhsa_fp16_overflow 0
		.amdhsa_workgroup_processor_mode 1
		.amdhsa_memory_ordered 1
		.amdhsa_forward_progress 0
		.amdhsa_round_robin_scheduling 0
		.amdhsa_exception_fp_ieee_invalid_op 0
		.amdhsa_exception_fp_denorm_src 0
		.amdhsa_exception_fp_ieee_div_zero 0
		.amdhsa_exception_fp_ieee_overflow 0
		.amdhsa_exception_fp_ieee_underflow 0
		.amdhsa_exception_fp_ieee_inexact 0
		.amdhsa_exception_int_div_zero 0
	.end_amdhsa_kernel
	.text
.Lfunc_end0:
	.size	fft_rtc_fwd_len1920_factors_10_6_16_2_wgs_240_tpt_120_halfLds_dp_op_CI_CI_unitstride_sbrr_dirReg, .Lfunc_end0-fft_rtc_fwd_len1920_factors_10_6_16_2_wgs_240_tpt_120_halfLds_dp_op_CI_CI_unitstride_sbrr_dirReg
                                        ; -- End function
	.section	.AMDGPU.csdata,"",@progbits
; Kernel info:
; codeLenInByte = 11220
; NumSgprs: 41
; NumVgprs: 168
; ScratchSize: 0
; MemoryBound: 1
; FloatMode: 240
; IeeeMode: 1
; LDSByteSize: 0 bytes/workgroup (compile time only)
; SGPRBlocks: 5
; VGPRBlocks: 20
; NumSGPRsForWavesPerEU: 41
; NumVGPRsForWavesPerEU: 168
; Occupancy: 9
; WaveLimiterHint : 1
; COMPUTE_PGM_RSRC2:SCRATCH_EN: 0
; COMPUTE_PGM_RSRC2:USER_SGPR: 2
; COMPUTE_PGM_RSRC2:TRAP_HANDLER: 0
; COMPUTE_PGM_RSRC2:TGID_X_EN: 1
; COMPUTE_PGM_RSRC2:TGID_Y_EN: 0
; COMPUTE_PGM_RSRC2:TGID_Z_EN: 0
; COMPUTE_PGM_RSRC2:TIDIG_COMP_CNT: 0
	.text
	.p2alignl 7, 3214868480
	.fill 96, 4, 3214868480
	.type	__hip_cuid_9f7be0084a411b3d,@object ; @__hip_cuid_9f7be0084a411b3d
	.section	.bss,"aw",@nobits
	.globl	__hip_cuid_9f7be0084a411b3d
__hip_cuid_9f7be0084a411b3d:
	.byte	0                               ; 0x0
	.size	__hip_cuid_9f7be0084a411b3d, 1

	.ident	"AMD clang version 19.0.0git (https://github.com/RadeonOpenCompute/llvm-project roc-6.4.0 25133 c7fe45cf4b819c5991fe208aaa96edf142730f1d)"
	.section	".note.GNU-stack","",@progbits
	.addrsig
	.addrsig_sym __hip_cuid_9f7be0084a411b3d
	.amdgpu_metadata
---
amdhsa.kernels:
  - .args:
      - .actual_access:  read_only
        .address_space:  global
        .offset:         0
        .size:           8
        .value_kind:     global_buffer
      - .offset:         8
        .size:           8
        .value_kind:     by_value
      - .actual_access:  read_only
        .address_space:  global
        .offset:         16
        .size:           8
        .value_kind:     global_buffer
      - .actual_access:  read_only
        .address_space:  global
        .offset:         24
        .size:           8
        .value_kind:     global_buffer
      - .actual_access:  read_only
        .address_space:  global
        .offset:         32
        .size:           8
        .value_kind:     global_buffer
      - .offset:         40
        .size:           8
        .value_kind:     by_value
      - .actual_access:  read_only
        .address_space:  global
        .offset:         48
        .size:           8
        .value_kind:     global_buffer
      - .actual_access:  read_only
        .address_space:  global
        .offset:         56
        .size:           8
        .value_kind:     global_buffer
      - .offset:         64
        .size:           4
        .value_kind:     by_value
      - .actual_access:  read_only
        .address_space:  global
        .offset:         72
        .size:           8
        .value_kind:     global_buffer
      - .actual_access:  read_only
        .address_space:  global
        .offset:         80
        .size:           8
        .value_kind:     global_buffer
      - .actual_access:  read_only
        .address_space:  global
        .offset:         88
        .size:           8
        .value_kind:     global_buffer
      - .actual_access:  write_only
        .address_space:  global
        .offset:         96
        .size:           8
        .value_kind:     global_buffer
    .group_segment_fixed_size: 0
    .kernarg_segment_align: 8
    .kernarg_segment_size: 104
    .language:       OpenCL C
    .language_version:
      - 2
      - 0
    .max_flat_workgroup_size: 240
    .name:           fft_rtc_fwd_len1920_factors_10_6_16_2_wgs_240_tpt_120_halfLds_dp_op_CI_CI_unitstride_sbrr_dirReg
    .private_segment_fixed_size: 0
    .sgpr_count:     41
    .sgpr_spill_count: 0
    .symbol:         fft_rtc_fwd_len1920_factors_10_6_16_2_wgs_240_tpt_120_halfLds_dp_op_CI_CI_unitstride_sbrr_dirReg.kd
    .uniform_work_group_size: 1
    .uses_dynamic_stack: false
    .vgpr_count:     168
    .vgpr_spill_count: 0
    .wavefront_size: 32
    .workgroup_processor_mode: 1
amdhsa.target:   amdgcn-amd-amdhsa--gfx1201
amdhsa.version:
  - 1
  - 2
...

	.end_amdgpu_metadata
